;; amdgpu-corpus repo=ggml-org/llama.cpp kind=compiled arch=gfx1250 opt=O3
	.amdgcn_target "amdgcn-amd-amdhsa--gfx1250"
	.amdhsa_code_object_version 6
	.section	.text._ZL17soft_max_back_f32PKfS0_Pfif,"axG",@progbits,_ZL17soft_max_back_f32PKfS0_Pfif,comdat
	.globl	_ZL17soft_max_back_f32PKfS0_Pfif ; -- Begin function _ZL17soft_max_back_f32PKfS0_Pfif
	.p2align	8
	.type	_ZL17soft_max_back_f32PKfS0_Pfif,@function
_ZL17soft_max_back_f32PKfS0_Pfif:       ; @_ZL17soft_max_back_f32PKfS0_Pfif
; %bb.0:
	s_load_b256 s[4:11], s[0:1], 0x0
	s_wait_xcnt 0x0
	s_bfe_u32 s0, ttmp6, 0x4000c
	s_and_b32 s1, ttmp6, 15
	s_add_co_i32 s0, s0, 1
	s_getreg_b32 s2, hwreg(HW_REG_IB_STS2, 6, 4)
	s_mul_i32 s0, ttmp9, s0
	v_dual_mov_b32 v3, 0 :: v_dual_lshlrev_b32 v2, 2, v0
	s_add_co_i32 s1, s1, s0
	s_cmp_eq_u32 s2, 0
	s_cselect_b32 s0, ttmp9, s1
	s_delay_alu instid0(SALU_CYCLE_1)
	s_ashr_i32 s1, s0, 31
	s_wait_kmcnt 0x0
	v_cmp_gt_i32_e32 vcc_lo, s10, v0
	s_ashr_i32 s3, s10, 31
	s_mov_b32 s2, s10
	s_mov_b32 s10, 0
	s_mul_u64 s[12:13], s[0:1], s[2:3]
	s_and_saveexec_b32 s1, vcc_lo
	s_cbranch_execz .LBB0_4
; %bb.1:
	v_dual_mov_b32 v3, 0 :: v_dual_mov_b32 v1, v0
	s_delay_alu instid0(VALU_DEP_1) | instskip(NEXT) | instid1(VALU_DEP_1)
	v_lshl_add_u64 v[6:7], s[12:13], 2, v[2:3]
	v_add_nc_u64_e32 v[4:5], s[6:7], v[6:7]
	v_add_nc_u64_e32 v[6:7], s[4:5], v[6:7]
.LBB0_2:                                ; =>This Inner Loop Header: Depth=1
	global_load_b32 v8, v[4:5], off
	global_load_b32 v9, v[6:7], off
	v_add_nc_u32_e32 v1, 32, v1
	s_wait_xcnt 0x1
	v_add_nc_u64_e32 v[4:5], 0x80, v[4:5]
	s_wait_xcnt 0x0
	v_add_nc_u64_e32 v[6:7], 0x80, v[6:7]
	v_cmp_le_i32_e64 s0, s2, v1
	s_or_b32 s10, s0, s10
	s_wait_loadcnt 0x0
	v_fmac_f32_e32 v3, v8, v9
	s_and_not1_b32 exec_lo, exec_lo, s10
	s_cbranch_execnz .LBB0_2
; %bb.3:
	s_or_b32 exec_lo, exec_lo, s10
.LBB0_4:
	s_delay_alu instid0(SALU_CYCLE_1) | instskip(SKIP_1) | instid1(VALU_DEP_1)
	s_or_b32 exec_lo, exec_lo, s1
	v_mbcnt_lo_u32_b32 v1, -1, 0
	v_xor_b32_e32 v4, 16, v1
	v_xor_b32_e32 v5, 8, v1
	s_delay_alu instid0(VALU_DEP_2) | instskip(NEXT) | instid1(VALU_DEP_1)
	v_cmp_gt_i32_e64 s0, 32, v4
	v_cndmask_b32_e64 v4, v1, v4, s0
	s_delay_alu instid0(VALU_DEP_3) | instskip(NEXT) | instid1(VALU_DEP_1)
	v_cmp_gt_i32_e64 s0, 32, v5
	v_dual_lshlrev_b32 v4, 2, v4 :: v_dual_cndmask_b32 v5, v1, v5, s0
	ds_bpermute_b32 v4, v4, v3
	s_wait_dscnt 0x0
	v_dual_lshlrev_b32 v5, 2, v5 :: v_dual_add_f32 v3, v3, v4
	ds_bpermute_b32 v4, v5, v3
	s_wait_dscnt 0x0
	v_dual_add_f32 v3, v3, v4 :: v_dual_bitop2_b32 v5, 4, v1 bitop3:0x14
	s_delay_alu instid0(VALU_DEP_1) | instskip(NEXT) | instid1(VALU_DEP_1)
	v_cmp_gt_i32_e64 s0, 32, v5
	v_cndmask_b32_e64 v5, v1, v5, s0
	s_delay_alu instid0(VALU_DEP_1) | instskip(SKIP_2) | instid1(VALU_DEP_1)
	v_lshlrev_b32_e32 v5, 2, v5
	ds_bpermute_b32 v4, v5, v3
	v_xor_b32_e32 v5, 2, v1
	v_cmp_gt_i32_e64 s0, 32, v5
	s_delay_alu instid0(VALU_DEP_1) | instskip(SKIP_1) | instid1(VALU_DEP_1)
	v_cndmask_b32_e64 v5, v1, v5, s0
	s_wait_dscnt 0x0
	v_dual_lshlrev_b32 v5, 2, v5 :: v_dual_add_f32 v3, v3, v4
	ds_bpermute_b32 v4, v5, v3
	v_xor_b32_e32 v5, 1, v1
	s_delay_alu instid0(VALU_DEP_1) | instskip(NEXT) | instid1(VALU_DEP_1)
	v_cmp_gt_i32_e64 s0, 32, v5
	v_cndmask_b32_e64 v5, v1, v5, s0
	s_mov_b32 s0, 0
	s_wait_dscnt 0x0
	s_delay_alu instid0(VALU_DEP_1)
	v_dual_add_f32 v1, v3, v4 :: v_dual_lshlrev_b32 v3, 2, v5
	ds_bpermute_b32 v8, v3, v1
	s_and_saveexec_b32 s1, vcc_lo
	s_cbranch_execz .LBB0_7
; %bb.5:
	s_wait_dscnt 0x0
	v_dual_mov_b32 v3, 0 :: v_dual_add_f32 v1, v1, v8
	s_delay_alu instid0(VALU_DEP_1) | instskip(NEXT) | instid1(VALU_DEP_1)
	v_lshl_add_u64 v[6:7], s[12:13], 2, v[2:3]
	v_add_nc_u64_e32 v[2:3], s[4:5], v[6:7]
	v_add_nc_u64_e32 v[4:5], s[6:7], v[6:7]
	;; [unrolled: 1-line block ×3, first 2 shown]
.LBB0_6:                                ; =>This Inner Loop Header: Depth=1
	global_load_b32 v8, v[2:3], off
	global_load_b32 v9, v[4:5], off
	s_wait_xcnt 0x1
	v_add_nc_u64_e32 v[2:3], 0x80, v[2:3]
	s_wait_xcnt 0x0
	v_add_nc_u64_e32 v[4:5], 0x80, v[4:5]
	v_add_nc_u32_e32 v0, 32, v0
	s_delay_alu instid0(VALU_DEP_1) | instskip(SKIP_3) | instid1(VALU_DEP_1)
	v_cmp_le_i32_e32 vcc_lo, s2, v0
	s_or_b32 s0, vcc_lo, s0
	s_wait_loadcnt 0x1
	v_sub_f32_e32 v8, v8, v1
	v_mul_f32_e32 v8, s11, v8
	s_wait_loadcnt 0x0
	s_delay_alu instid0(VALU_DEP_1)
	v_mul_f32_e32 v8, v9, v8
	global_store_b32 v[6:7], v8, off
	s_wait_xcnt 0x0
	v_add_nc_u64_e32 v[6:7], 0x80, v[6:7]
	s_and_not1_b32 exec_lo, exec_lo, s0
	s_cbranch_execnz .LBB0_6
.LBB0_7:
	s_endpgm
	.section	.rodata,"a",@progbits
	.p2align	6, 0x0
	.amdhsa_kernel _ZL17soft_max_back_f32PKfS0_Pfif
		.amdhsa_group_segment_fixed_size 0
		.amdhsa_private_segment_fixed_size 0
		.amdhsa_kernarg_size 32
		.amdhsa_user_sgpr_count 2
		.amdhsa_user_sgpr_dispatch_ptr 0
		.amdhsa_user_sgpr_queue_ptr 0
		.amdhsa_user_sgpr_kernarg_segment_ptr 1
		.amdhsa_user_sgpr_dispatch_id 0
		.amdhsa_user_sgpr_kernarg_preload_length 0
		.amdhsa_user_sgpr_kernarg_preload_offset 0
		.amdhsa_user_sgpr_private_segment_size 0
		.amdhsa_wavefront_size32 1
		.amdhsa_uses_dynamic_stack 0
		.amdhsa_enable_private_segment 0
		.amdhsa_system_sgpr_workgroup_id_x 1
		.amdhsa_system_sgpr_workgroup_id_y 0
		.amdhsa_system_sgpr_workgroup_id_z 0
		.amdhsa_system_sgpr_workgroup_info 0
		.amdhsa_system_vgpr_workitem_id 0
		.amdhsa_next_free_vgpr 10
		.amdhsa_next_free_sgpr 14
		.amdhsa_named_barrier_count 0
		.amdhsa_reserve_vcc 1
		.amdhsa_float_round_mode_32 0
		.amdhsa_float_round_mode_16_64 0
		.amdhsa_float_denorm_mode_32 3
		.amdhsa_float_denorm_mode_16_64 3
		.amdhsa_fp16_overflow 0
		.amdhsa_memory_ordered 1
		.amdhsa_forward_progress 1
		.amdhsa_inst_pref_size 5
		.amdhsa_round_robin_scheduling 0
		.amdhsa_exception_fp_ieee_invalid_op 0
		.amdhsa_exception_fp_denorm_src 0
		.amdhsa_exception_fp_ieee_div_zero 0
		.amdhsa_exception_fp_ieee_overflow 0
		.amdhsa_exception_fp_ieee_underflow 0
		.amdhsa_exception_fp_ieee_inexact 0
		.amdhsa_exception_int_div_zero 0
	.end_amdhsa_kernel
	.section	.text._ZL17soft_max_back_f32PKfS0_Pfif,"axG",@progbits,_ZL17soft_max_back_f32PKfS0_Pfif,comdat
.Lfunc_end0:
	.size	_ZL17soft_max_back_f32PKfS0_Pfif, .Lfunc_end0-_ZL17soft_max_back_f32PKfS0_Pfif
                                        ; -- End function
	.set _ZL17soft_max_back_f32PKfS0_Pfif.num_vgpr, 10
	.set _ZL17soft_max_back_f32PKfS0_Pfif.num_agpr, 0
	.set _ZL17soft_max_back_f32PKfS0_Pfif.numbered_sgpr, 14
	.set _ZL17soft_max_back_f32PKfS0_Pfif.num_named_barrier, 0
	.set _ZL17soft_max_back_f32PKfS0_Pfif.private_seg_size, 0
	.set _ZL17soft_max_back_f32PKfS0_Pfif.uses_vcc, 1
	.set _ZL17soft_max_back_f32PKfS0_Pfif.uses_flat_scratch, 0
	.set _ZL17soft_max_back_f32PKfS0_Pfif.has_dyn_sized_stack, 0
	.set _ZL17soft_max_back_f32PKfS0_Pfif.has_recursion, 0
	.set _ZL17soft_max_back_f32PKfS0_Pfif.has_indirect_call, 0
	.section	.AMDGPU.csdata,"",@progbits
; Kernel info:
; codeLenInByte = 640
; TotalNumSgprs: 16
; NumVgprs: 10
; ScratchSize: 0
; MemoryBound: 0
; FloatMode: 240
; IeeeMode: 1
; LDSByteSize: 0 bytes/workgroup (compile time only)
; SGPRBlocks: 0
; VGPRBlocks: 0
; NumSGPRsForWavesPerEU: 16
; NumVGPRsForWavesPerEU: 10
; NamedBarCnt: 0
; Occupancy: 16
; WaveLimiterHint : 0
; COMPUTE_PGM_RSRC2:SCRATCH_EN: 0
; COMPUTE_PGM_RSRC2:USER_SGPR: 2
; COMPUTE_PGM_RSRC2:TRAP_HANDLER: 0
; COMPUTE_PGM_RSRC2:TGID_X_EN: 1
; COMPUTE_PGM_RSRC2:TGID_Y_EN: 0
; COMPUTE_PGM_RSRC2:TGID_Z_EN: 0
; COMPUTE_PGM_RSRC2:TIDIG_COMP_CNT: 0
	.text
	.p2align	2                               ; -- Begin function __ockl_fprintf_append_string_n
	.type	__ockl_fprintf_append_string_n,@function
__ockl_fprintf_append_string_n:         ; @__ockl_fprintf_append_string_n
; %bb.0:
	s_wait_loadcnt_dscnt 0x0
	s_wait_kmcnt 0x0
	v_dual_mov_b32 v9, v3 :: v_dual_mov_b32 v8, v2
	v_or_b32_e32 v2, 2, v0
	v_cmp_eq_u32_e64 s0, 0, v6
	v_mbcnt_lo_u32_b32 v30, -1, 0
	s_mov_b32 s7, 0
	v_cndmask_b32_e64 v0, v2, v0, s0
	s_mov_b32 s0, exec_lo
	v_cmpx_ne_u64_e32 0, v[8:9]
	s_xor_b32 s6, exec_lo, s0
	s_cbranch_execz .LBB1_86
; %bb.1:
	s_load_b64 s[2:3], s[8:9], 0x50
	v_mov_b64_e32 v[12:13], 0x100000002
	v_dual_mov_b32 v11, 0 :: v_dual_bitop2_b32 v6, 2, v0 bitop3:0x40
	v_and_b32_e32 v0, -3, v0
	s_mov_b32 s10, 0
	s_branch .LBB1_3
.LBB1_2:                                ;   in Loop: Header=BB1_3 Depth=1
	s_or_b32 exec_lo, exec_lo, s11
	v_sub_nc_u64_e32 v[4:5], v[4:5], v[32:33]
	v_add_nc_u64_e32 v[8:9], v[8:9], v[32:33]
	s_delay_alu instid0(VALU_DEP_2) | instskip(SKIP_1) | instid1(SALU_CYCLE_1)
	v_cmp_eq_u64_e32 vcc_lo, 0, v[4:5]
	s_or_b32 s10, vcc_lo, s10
	s_and_not1_b32 exec_lo, exec_lo, s10
	s_cbranch_execz .LBB1_85
.LBB1_3:                                ; =>This Loop Header: Depth=1
                                        ;     Child Loop BB1_6 Depth 2
                                        ;     Child Loop BB1_14 Depth 2
	;; [unrolled: 1-line block ×11, first 2 shown]
	v_min_u64 v[32:33], v[4:5], 56
	s_delay_alu instid0(VALU_DEP_3)
	v_add_nc_u64_e32 v[16:17], 8, v[8:9]
	s_mov_b32 s0, exec_lo
	v_cmpx_gt_u64_e32 8, v[4:5]
	s_xor_b32 s4, exec_lo, s0
	s_cbranch_execz .LBB1_9
; %bb.4:                                ;   in Loop: Header=BB1_3 Depth=1
	s_wait_loadcnt 0x0
	v_mov_b64_e32 v[2:3], 0
	s_mov_b32 s5, exec_lo
	v_cmpx_ne_u64_e32 0, v[4:5]
	s_cbranch_execz .LBB1_8
; %bb.5:                                ;   in Loop: Header=BB1_3 Depth=1
	v_mov_b64_e32 v[2:3], 0
	v_mov_b64_e32 v[14:15], v[8:9]
	v_lshlrev_b32_e32 v10, 3, v32
	s_mov_b64 s[0:1], 0
	s_mov_b32 s11, 0
.LBB1_6:                                ;   Parent Loop BB1_3 Depth=1
                                        ; =>  This Inner Loop Header: Depth=2
	global_load_u8 v7, v[14:15], off
	v_mov_b32_e32 v17, s7
	s_wait_xcnt 0x0
	v_add_nc_u64_e32 v[14:15], 1, v[14:15]
	s_wait_loadcnt 0x0
	v_and_b32_e32 v16, 0xffff, v7
	s_delay_alu instid0(VALU_DEP_1) | instskip(SKIP_1) | instid1(SALU_CYCLE_1)
	v_lshlrev_b64_e32 v[16:17], s0, v[16:17]
	s_add_nc_u64 s[0:1], s[0:1], 8
	v_cmp_eq_u32_e32 vcc_lo, s0, v10
	s_delay_alu instid0(VALU_DEP_2) | instskip(NEXT) | instid1(VALU_DEP_3)
	v_or_b32_e32 v3, v17, v3
	v_or_b32_e32 v2, v16, v2
	s_or_b32 s11, vcc_lo, s11
	s_delay_alu instid0(SALU_CYCLE_1)
	s_and_not1_b32 exec_lo, exec_lo, s11
	s_cbranch_execnz .LBB1_6
; %bb.7:                                ;   in Loop: Header=BB1_3 Depth=1
	s_or_b32 exec_lo, exec_lo, s11
.LBB1_8:                                ;   in Loop: Header=BB1_3 Depth=1
	s_delay_alu instid0(SALU_CYCLE_1)
	s_or_b32 exec_lo, exec_lo, s5
	v_mov_b64_e32 v[16:17], v[8:9]
.LBB1_9:                                ;   in Loop: Header=BB1_3 Depth=1
	s_or_saveexec_b32 s0, s4
	v_mov_b32_e32 v7, 0
	s_xor_b32 exec_lo, exec_lo, s0
	s_cbranch_execz .LBB1_11
; %bb.10:                               ;   in Loop: Header=BB1_3 Depth=1
	s_wait_loadcnt 0x0
	global_load_b64 v[2:3], v[8:9], off
	v_add_nc_u32_e32 v7, -8, v32
.LBB1_11:                               ;   in Loop: Header=BB1_3 Depth=1
	s_wait_xcnt 0x0
	s_or_b32 exec_lo, exec_lo, s0
	v_add_nc_u64_e32 v[18:19], 8, v[16:17]
                                        ; implicit-def: $vgpr14_vgpr15
	s_mov_b32 s0, exec_lo
	v_cmpx_gt_u32_e32 8, v7
	s_xor_b32 s11, exec_lo, s0
	s_cbranch_execz .LBB1_17
; %bb.12:                               ;   in Loop: Header=BB1_3 Depth=1
	v_mov_b64_e32 v[14:15], 0
	s_mov_b32 s12, exec_lo
	v_cmpx_ne_u32_e32 0, v7
	s_cbranch_execz .LBB1_16
; %bb.13:                               ;   in Loop: Header=BB1_3 Depth=1
	v_mov_b64_e32 v[14:15], 0
	s_mov_b64 s[0:1], 0
	s_mov_b32 s13, 0
	s_mov_b64 s[4:5], 0
.LBB1_14:                               ;   Parent Loop BB1_3 Depth=1
                                        ; =>  This Inner Loop Header: Depth=2
	s_delay_alu instid0(SALU_CYCLE_1) | instskip(SKIP_1) | instid1(SALU_CYCLE_1)
	v_add_nc_u64_e32 v[18:19], s[4:5], v[16:17]
	s_add_nc_u64 s[4:5], s[4:5], 1
	v_cmp_eq_u32_e32 vcc_lo, s4, v7
	global_load_u8 v10, v[18:19], off
	s_wait_xcnt 0x0
	v_mov_b32_e32 v19, s7
	s_or_b32 s13, vcc_lo, s13
	s_wait_loadcnt 0x0
	v_and_b32_e32 v18, 0xffff, v10
	s_delay_alu instid0(VALU_DEP_1) | instskip(SKIP_1) | instid1(VALU_DEP_1)
	v_lshlrev_b64_e32 v[18:19], s0, v[18:19]
	s_add_nc_u64 s[0:1], s[0:1], 8
	v_or_b32_e32 v15, v19, v15
	s_delay_alu instid0(VALU_DEP_2)
	v_or_b32_e32 v14, v18, v14
	s_and_not1_b32 exec_lo, exec_lo, s13
	s_cbranch_execnz .LBB1_14
; %bb.15:                               ;   in Loop: Header=BB1_3 Depth=1
	s_or_b32 exec_lo, exec_lo, s13
.LBB1_16:                               ;   in Loop: Header=BB1_3 Depth=1
	s_delay_alu instid0(SALU_CYCLE_1)
	s_or_b32 exec_lo, exec_lo, s12
	v_mov_b64_e32 v[18:19], v[16:17]
                                        ; implicit-def: $vgpr7
.LBB1_17:                               ;   in Loop: Header=BB1_3 Depth=1
	s_or_saveexec_b32 s0, s11
	v_mov_b32_e32 v10, 0
	s_xor_b32 exec_lo, exec_lo, s0
	s_cbranch_execz .LBB1_19
; %bb.18:                               ;   in Loop: Header=BB1_3 Depth=1
	global_load_b64 v[14:15], v[16:17], off
	v_add_nc_u32_e32 v10, -8, v7
.LBB1_19:                               ;   in Loop: Header=BB1_3 Depth=1
	s_wait_xcnt 0x0
	s_or_b32 exec_lo, exec_lo, s0
	v_add_nc_u64_e32 v[20:21], 8, v[18:19]
	s_mov_b32 s0, exec_lo
	v_cmpx_gt_u32_e32 8, v10
	s_xor_b32 s11, exec_lo, s0
	s_cbranch_execz .LBB1_25
; %bb.20:                               ;   in Loop: Header=BB1_3 Depth=1
	v_mov_b64_e32 v[16:17], 0
	s_mov_b32 s12, exec_lo
	v_cmpx_ne_u32_e32 0, v10
	s_cbranch_execz .LBB1_24
; %bb.21:                               ;   in Loop: Header=BB1_3 Depth=1
	v_mov_b64_e32 v[16:17], 0
	s_mov_b64 s[0:1], 0
	s_mov_b32 s13, 0
	s_mov_b64 s[4:5], 0
.LBB1_22:                               ;   Parent Loop BB1_3 Depth=1
                                        ; =>  This Inner Loop Header: Depth=2
	s_delay_alu instid0(SALU_CYCLE_1) | instskip(SKIP_1) | instid1(SALU_CYCLE_1)
	v_add_nc_u64_e32 v[20:21], s[4:5], v[18:19]
	s_add_nc_u64 s[4:5], s[4:5], 1
	v_cmp_eq_u32_e32 vcc_lo, s4, v10
	global_load_u8 v7, v[20:21], off
	s_wait_xcnt 0x0
	v_mov_b32_e32 v21, s7
	s_or_b32 s13, vcc_lo, s13
	s_wait_loadcnt 0x0
	v_and_b32_e32 v20, 0xffff, v7
	s_delay_alu instid0(VALU_DEP_1) | instskip(SKIP_1) | instid1(VALU_DEP_1)
	v_lshlrev_b64_e32 v[20:21], s0, v[20:21]
	s_add_nc_u64 s[0:1], s[0:1], 8
	v_or_b32_e32 v17, v21, v17
	s_delay_alu instid0(VALU_DEP_2)
	v_or_b32_e32 v16, v20, v16
	s_and_not1_b32 exec_lo, exec_lo, s13
	s_cbranch_execnz .LBB1_22
; %bb.23:                               ;   in Loop: Header=BB1_3 Depth=1
	s_or_b32 exec_lo, exec_lo, s13
.LBB1_24:                               ;   in Loop: Header=BB1_3 Depth=1
	s_delay_alu instid0(SALU_CYCLE_1)
	s_or_b32 exec_lo, exec_lo, s12
	v_mov_b64_e32 v[20:21], v[18:19]
                                        ; implicit-def: $vgpr10
.LBB1_25:                               ;   in Loop: Header=BB1_3 Depth=1
	s_or_saveexec_b32 s0, s11
	v_mov_b32_e32 v7, 0
	s_xor_b32 exec_lo, exec_lo, s0
	s_cbranch_execz .LBB1_27
; %bb.26:                               ;   in Loop: Header=BB1_3 Depth=1
	global_load_b64 v[16:17], v[18:19], off
	v_add_nc_u32_e32 v7, -8, v10
.LBB1_27:                               ;   in Loop: Header=BB1_3 Depth=1
	s_wait_xcnt 0x0
	s_or_b32 exec_lo, exec_lo, s0
	v_add_nc_u64_e32 v[22:23], 8, v[20:21]
                                        ; implicit-def: $vgpr18_vgpr19
	s_mov_b32 s0, exec_lo
	v_cmpx_gt_u32_e32 8, v7
	s_xor_b32 s11, exec_lo, s0
	s_cbranch_execz .LBB1_33
; %bb.28:                               ;   in Loop: Header=BB1_3 Depth=1
	v_mov_b64_e32 v[18:19], 0
	s_mov_b32 s12, exec_lo
	v_cmpx_ne_u32_e32 0, v7
	s_cbranch_execz .LBB1_32
; %bb.29:                               ;   in Loop: Header=BB1_3 Depth=1
	v_mov_b64_e32 v[18:19], 0
	s_mov_b64 s[0:1], 0
	s_mov_b32 s13, 0
	s_mov_b64 s[4:5], 0
.LBB1_30:                               ;   Parent Loop BB1_3 Depth=1
                                        ; =>  This Inner Loop Header: Depth=2
	s_delay_alu instid0(SALU_CYCLE_1) | instskip(SKIP_1) | instid1(SALU_CYCLE_1)
	v_add_nc_u64_e32 v[22:23], s[4:5], v[20:21]
	s_add_nc_u64 s[4:5], s[4:5], 1
	v_cmp_eq_u32_e32 vcc_lo, s4, v7
	global_load_u8 v10, v[22:23], off
	s_wait_xcnt 0x0
	v_mov_b32_e32 v23, s7
	s_or_b32 s13, vcc_lo, s13
	s_wait_loadcnt 0x0
	v_and_b32_e32 v22, 0xffff, v10
	s_delay_alu instid0(VALU_DEP_1) | instskip(SKIP_1) | instid1(VALU_DEP_1)
	v_lshlrev_b64_e32 v[22:23], s0, v[22:23]
	s_add_nc_u64 s[0:1], s[0:1], 8
	v_or_b32_e32 v19, v23, v19
	s_delay_alu instid0(VALU_DEP_2)
	v_or_b32_e32 v18, v22, v18
	s_and_not1_b32 exec_lo, exec_lo, s13
	s_cbranch_execnz .LBB1_30
; %bb.31:                               ;   in Loop: Header=BB1_3 Depth=1
	s_or_b32 exec_lo, exec_lo, s13
.LBB1_32:                               ;   in Loop: Header=BB1_3 Depth=1
	s_delay_alu instid0(SALU_CYCLE_1)
	s_or_b32 exec_lo, exec_lo, s12
	v_mov_b64_e32 v[22:23], v[20:21]
                                        ; implicit-def: $vgpr7
.LBB1_33:                               ;   in Loop: Header=BB1_3 Depth=1
	s_or_saveexec_b32 s0, s11
	v_mov_b32_e32 v10, 0
	s_xor_b32 exec_lo, exec_lo, s0
	s_cbranch_execz .LBB1_35
; %bb.34:                               ;   in Loop: Header=BB1_3 Depth=1
	global_load_b64 v[18:19], v[20:21], off
	v_add_nc_u32_e32 v10, -8, v7
.LBB1_35:                               ;   in Loop: Header=BB1_3 Depth=1
	s_wait_xcnt 0x0
	s_or_b32 exec_lo, exec_lo, s0
	v_add_nc_u64_e32 v[24:25], 8, v[22:23]
	s_mov_b32 s0, exec_lo
	v_cmpx_gt_u32_e32 8, v10
	s_xor_b32 s11, exec_lo, s0
	s_cbranch_execz .LBB1_41
; %bb.36:                               ;   in Loop: Header=BB1_3 Depth=1
	v_mov_b64_e32 v[20:21], 0
	s_mov_b32 s12, exec_lo
	v_cmpx_ne_u32_e32 0, v10
	s_cbranch_execz .LBB1_40
; %bb.37:                               ;   in Loop: Header=BB1_3 Depth=1
	v_mov_b64_e32 v[20:21], 0
	s_mov_b64 s[0:1], 0
	s_mov_b32 s13, 0
	s_mov_b64 s[4:5], 0
.LBB1_38:                               ;   Parent Loop BB1_3 Depth=1
                                        ; =>  This Inner Loop Header: Depth=2
	s_delay_alu instid0(SALU_CYCLE_1) | instskip(SKIP_1) | instid1(SALU_CYCLE_1)
	v_add_nc_u64_e32 v[24:25], s[4:5], v[22:23]
	s_add_nc_u64 s[4:5], s[4:5], 1
	v_cmp_eq_u32_e32 vcc_lo, s4, v10
	global_load_u8 v7, v[24:25], off
	s_wait_xcnt 0x0
	v_mov_b32_e32 v25, s7
	s_or_b32 s13, vcc_lo, s13
	s_wait_loadcnt 0x0
	v_and_b32_e32 v24, 0xffff, v7
	s_delay_alu instid0(VALU_DEP_1) | instskip(SKIP_1) | instid1(VALU_DEP_1)
	v_lshlrev_b64_e32 v[24:25], s0, v[24:25]
	s_add_nc_u64 s[0:1], s[0:1], 8
	v_or_b32_e32 v21, v25, v21
	s_delay_alu instid0(VALU_DEP_2)
	v_or_b32_e32 v20, v24, v20
	s_and_not1_b32 exec_lo, exec_lo, s13
	s_cbranch_execnz .LBB1_38
; %bb.39:                               ;   in Loop: Header=BB1_3 Depth=1
	s_or_b32 exec_lo, exec_lo, s13
.LBB1_40:                               ;   in Loop: Header=BB1_3 Depth=1
	s_delay_alu instid0(SALU_CYCLE_1)
	s_or_b32 exec_lo, exec_lo, s12
	v_mov_b64_e32 v[24:25], v[22:23]
                                        ; implicit-def: $vgpr10
.LBB1_41:                               ;   in Loop: Header=BB1_3 Depth=1
	s_or_saveexec_b32 s0, s11
	v_mov_b32_e32 v7, 0
	s_xor_b32 exec_lo, exec_lo, s0
	s_cbranch_execz .LBB1_43
; %bb.42:                               ;   in Loop: Header=BB1_3 Depth=1
	global_load_b64 v[20:21], v[22:23], off
	v_add_nc_u32_e32 v7, -8, v10
.LBB1_43:                               ;   in Loop: Header=BB1_3 Depth=1
	s_wait_xcnt 0x0
	s_or_b32 exec_lo, exec_lo, s0
	v_add_nc_u64_e32 v[26:27], 8, v[24:25]
                                        ; implicit-def: $vgpr22_vgpr23
	s_mov_b32 s0, exec_lo
	v_cmpx_gt_u32_e32 8, v7
	s_xor_b32 s11, exec_lo, s0
	s_cbranch_execz .LBB1_49
; %bb.44:                               ;   in Loop: Header=BB1_3 Depth=1
	v_mov_b64_e32 v[22:23], 0
	s_mov_b32 s12, exec_lo
	v_cmpx_ne_u32_e32 0, v7
	s_cbranch_execz .LBB1_48
; %bb.45:                               ;   in Loop: Header=BB1_3 Depth=1
	v_mov_b64_e32 v[22:23], 0
	s_mov_b64 s[0:1], 0
	s_mov_b32 s13, 0
	s_mov_b64 s[4:5], 0
.LBB1_46:                               ;   Parent Loop BB1_3 Depth=1
                                        ; =>  This Inner Loop Header: Depth=2
	s_delay_alu instid0(SALU_CYCLE_1) | instskip(SKIP_1) | instid1(SALU_CYCLE_1)
	v_add_nc_u64_e32 v[26:27], s[4:5], v[24:25]
	s_add_nc_u64 s[4:5], s[4:5], 1
	v_cmp_eq_u32_e32 vcc_lo, s4, v7
	global_load_u8 v10, v[26:27], off
	s_wait_xcnt 0x0
	v_mov_b32_e32 v27, s7
	s_or_b32 s13, vcc_lo, s13
	s_wait_loadcnt 0x0
	v_and_b32_e32 v26, 0xffff, v10
	s_delay_alu instid0(VALU_DEP_1) | instskip(SKIP_1) | instid1(VALU_DEP_1)
	v_lshlrev_b64_e32 v[26:27], s0, v[26:27]
	s_add_nc_u64 s[0:1], s[0:1], 8
	v_or_b32_e32 v23, v27, v23
	s_delay_alu instid0(VALU_DEP_2)
	v_or_b32_e32 v22, v26, v22
	s_and_not1_b32 exec_lo, exec_lo, s13
	s_cbranch_execnz .LBB1_46
; %bb.47:                               ;   in Loop: Header=BB1_3 Depth=1
	s_or_b32 exec_lo, exec_lo, s13
.LBB1_48:                               ;   in Loop: Header=BB1_3 Depth=1
	s_delay_alu instid0(SALU_CYCLE_1)
	s_or_b32 exec_lo, exec_lo, s12
	v_mov_b64_e32 v[26:27], v[24:25]
                                        ; implicit-def: $vgpr7
.LBB1_49:                               ;   in Loop: Header=BB1_3 Depth=1
	s_or_saveexec_b32 s0, s11
	v_mov_b32_e32 v10, 0
	s_xor_b32 exec_lo, exec_lo, s0
	s_cbranch_execz .LBB1_51
; %bb.50:                               ;   in Loop: Header=BB1_3 Depth=1
	global_load_b64 v[22:23], v[24:25], off
	v_add_nc_u32_e32 v10, -8, v7
.LBB1_51:                               ;   in Loop: Header=BB1_3 Depth=1
	s_wait_xcnt 0x0
	s_or_b32 exec_lo, exec_lo, s0
	s_delay_alu instid0(SALU_CYCLE_1) | instskip(NEXT) | instid1(VALU_DEP_1)
	s_mov_b32 s0, exec_lo
	v_cmpx_gt_u32_e32 8, v10
	s_xor_b32 s4, exec_lo, s0
	s_cbranch_execz .LBB1_57
; %bb.52:                               ;   in Loop: Header=BB1_3 Depth=1
	v_mov_b64_e32 v[24:25], 0
	s_mov_b32 s5, exec_lo
	v_cmpx_ne_u32_e32 0, v10
	s_cbranch_execz .LBB1_56
; %bb.53:                               ;   in Loop: Header=BB1_3 Depth=1
	v_mov_b64_e32 v[24:25], 0
	s_mov_b64 s[0:1], 0
	s_mov_b32 s11, 0
.LBB1_54:                               ;   Parent Loop BB1_3 Depth=1
                                        ; =>  This Inner Loop Header: Depth=2
	global_load_u8 v7, v[26:27], off
	v_dual_mov_b32 v29, s7 :: v_dual_add_nc_u32 v10, -1, v10
	s_wait_xcnt 0x0
	v_add_nc_u64_e32 v[26:27], 1, v[26:27]
	s_delay_alu instid0(VALU_DEP_2) | instskip(SKIP_3) | instid1(VALU_DEP_1)
	v_cmp_eq_u32_e32 vcc_lo, 0, v10
	s_or_b32 s11, vcc_lo, s11
	s_wait_loadcnt 0x0
	v_and_b32_e32 v28, 0xffff, v7
	v_lshlrev_b64_e32 v[28:29], s0, v[28:29]
	s_add_nc_u64 s[0:1], s[0:1], 8
	s_delay_alu instid0(VALU_DEP_1) | instskip(NEXT) | instid1(VALU_DEP_2)
	v_or_b32_e32 v25, v29, v25
	v_or_b32_e32 v24, v28, v24
	s_and_not1_b32 exec_lo, exec_lo, s11
	s_cbranch_execnz .LBB1_54
; %bb.55:                               ;   in Loop: Header=BB1_3 Depth=1
	s_or_b32 exec_lo, exec_lo, s11
.LBB1_56:                               ;   in Loop: Header=BB1_3 Depth=1
	s_delay_alu instid0(SALU_CYCLE_1)
	s_or_b32 exec_lo, exec_lo, s5
                                        ; implicit-def: $vgpr26_vgpr27
.LBB1_57:                               ;   in Loop: Header=BB1_3 Depth=1
	s_and_not1_saveexec_b32 s0, s4
	s_cbranch_execz .LBB1_59
; %bb.58:                               ;   in Loop: Header=BB1_3 Depth=1
	global_load_b64 v[24:25], v[26:27], off
.LBB1_59:                               ;   in Loop: Header=BB1_3 Depth=1
	s_wait_xcnt 0x0
	s_or_b32 exec_lo, exec_lo, s0
	v_readfirstlane_b32 s0, v30
	v_mov_b64_e32 v[34:35], 0
	s_delay_alu instid0(VALU_DEP_2)
	v_cmp_eq_u32_e64 s0, s0, v30
	s_and_saveexec_b32 s1, s0
	s_cbranch_execz .LBB1_65
; %bb.60:                               ;   in Loop: Header=BB1_3 Depth=1
	s_wait_kmcnt 0x0
	global_load_b64 v[28:29], v11, s[2:3] offset:24 scope:SCOPE_SYS
	s_wait_loadcnt 0x0
	global_inv scope:SCOPE_SYS
	s_clause 0x1
	global_load_b64 v[26:27], v11, s[2:3] offset:40
	global_load_b64 v[34:35], v11, s[2:3]
	s_mov_b32 s4, exec_lo
	s_wait_loadcnt 0x1
	v_and_b32_e32 v26, v26, v28
	v_and_b32_e32 v27, v27, v29
	s_delay_alu instid0(VALU_DEP_1) | instskip(SKIP_1) | instid1(VALU_DEP_1)
	v_mul_u64_e32 v[26:27], 24, v[26:27]
	s_wait_loadcnt 0x0
	v_add_nc_u64_e32 v[26:27], v[34:35], v[26:27]
	global_load_b64 v[26:27], v[26:27], off scope:SCOPE_SYS
	s_wait_xcnt 0x0
	s_wait_loadcnt 0x0
	global_atomic_cmpswap_b64 v[34:35], v11, v[26:29], s[2:3] offset:24 th:TH_ATOMIC_RETURN scope:SCOPE_SYS
	s_wait_loadcnt 0x0
	global_inv scope:SCOPE_SYS
	s_wait_xcnt 0x0
	v_cmpx_ne_u64_e64 v[34:35], v[28:29]
	s_cbranch_execz .LBB1_64
; %bb.61:                               ;   in Loop: Header=BB1_3 Depth=1
	s_mov_b32 s5, 0
.LBB1_62:                               ;   Parent Loop BB1_3 Depth=1
                                        ; =>  This Inner Loop Header: Depth=2
	s_sleep 1
	s_clause 0x1
	global_load_b64 v[26:27], v11, s[2:3] offset:40
	global_load_b64 v[36:37], v11, s[2:3]
	v_mov_b64_e32 v[28:29], v[34:35]
	s_wait_loadcnt 0x1
	s_delay_alu instid0(VALU_DEP_1) | instskip(SKIP_1) | instid1(VALU_DEP_1)
	v_and_b32_e32 v7, v26, v28
	s_wait_loadcnt 0x0
	v_mad_nc_u64_u32 v[34:35], v7, 24, v[36:37]
	s_delay_alu instid0(VALU_DEP_3) | instskip(NEXT) | instid1(VALU_DEP_1)
	v_and_b32_e32 v7, v27, v29
	v_mad_u32 v35, v7, 24, v35
	global_load_b64 v[26:27], v[34:35], off scope:SCOPE_SYS
	s_wait_xcnt 0x0
	s_wait_loadcnt 0x0
	global_atomic_cmpswap_b64 v[34:35], v11, v[26:29], s[2:3] offset:24 th:TH_ATOMIC_RETURN scope:SCOPE_SYS
	s_wait_loadcnt 0x0
	global_inv scope:SCOPE_SYS
	v_cmp_eq_u64_e32 vcc_lo, v[34:35], v[28:29]
	s_or_b32 s5, vcc_lo, s5
	s_wait_xcnt 0x0
	s_and_not1_b32 exec_lo, exec_lo, s5
	s_cbranch_execnz .LBB1_62
; %bb.63:                               ;   in Loop: Header=BB1_3 Depth=1
	s_or_b32 exec_lo, exec_lo, s5
.LBB1_64:                               ;   in Loop: Header=BB1_3 Depth=1
	s_delay_alu instid0(SALU_CYCLE_1)
	s_or_b32 exec_lo, exec_lo, s4
.LBB1_65:                               ;   in Loop: Header=BB1_3 Depth=1
	s_delay_alu instid0(SALU_CYCLE_1)
	s_or_b32 exec_lo, exec_lo, s1
	s_wait_kmcnt 0x0
	s_clause 0x1
	global_load_b64 v[36:37], v11, s[2:3] offset:40
	global_load_b128 v[26:29], v11, s[2:3]
	v_readfirstlane_b32 s4, v34
	v_readfirstlane_b32 s5, v35
	s_mov_b32 s1, exec_lo
	s_wait_loadcnt 0x1
	v_and_b32_e32 v36, s4, v36
	v_and_b32_e32 v37, s5, v37
	s_delay_alu instid0(VALU_DEP_1) | instskip(SKIP_1) | instid1(VALU_DEP_1)
	v_mul_u64_e32 v[34:35], 24, v[36:37]
	s_wait_loadcnt 0x0
	v_add_nc_u64_e32 v[34:35], v[26:27], v[34:35]
	s_wait_xcnt 0x0
	s_and_saveexec_b32 s11, s0
	s_cbranch_execz .LBB1_67
; %bb.66:                               ;   in Loop: Header=BB1_3 Depth=1
	v_mov_b32_e32 v10, s1
	global_store_b128 v[34:35], v[10:13], off offset:8
.LBB1_67:                               ;   in Loop: Header=BB1_3 Depth=1
	s_wait_xcnt 0x0
	s_or_b32 exec_lo, exec_lo, s11
	v_cmp_gt_u64_e32 vcc_lo, 57, v[4:5]
	v_lshlrev_b64_e32 v[36:37], 12, v[36:37]
	v_and_b32_e32 v0, 0xffffff1f, v0
	v_lshl_add_u32 v31, v32, 2, 28
	v_lshlrev_b32_e32 v10, 6, v30
	v_cndmask_b32_e32 v7, 0, v6, vcc_lo
	v_add_nc_u64_e32 v[28:29], v[28:29], v[36:37]
	s_delay_alu instid0(VALU_DEP_2) | instskip(NEXT) | instid1(VALU_DEP_2)
	v_or_b32_e32 v0, v0, v7
	v_readfirstlane_b32 s12, v28
	s_delay_alu instid0(VALU_DEP_3) | instskip(NEXT) | instid1(VALU_DEP_3)
	v_readfirstlane_b32 s13, v29
	v_and_or_b32 v0, 0x1e0, v31, v0
	s_clause 0x3
	global_store_b128 v10, v[0:3], s[12:13]
	global_store_b128 v10, v[14:17], s[12:13] offset:16
	global_store_b128 v10, v[18:21], s[12:13] offset:32
	;; [unrolled: 1-line block ×3, first 2 shown]
	s_wait_xcnt 0x0
	s_and_saveexec_b32 s1, s0
	s_cbranch_execz .LBB1_75
; %bb.68:                               ;   in Loop: Header=BB1_3 Depth=1
	s_clause 0x1
	global_load_b64 v[18:19], v11, s[2:3] offset:32 scope:SCOPE_SYS
	global_load_b64 v[0:1], v11, s[2:3] offset:40
	s_mov_b32 s11, exec_lo
	v_dual_mov_b32 v16, s4 :: v_dual_mov_b32 v17, s5
	s_wait_loadcnt 0x0
	v_and_b32_e32 v1, s5, v1
	v_and_b32_e32 v0, s4, v0
	s_delay_alu instid0(VALU_DEP_1) | instskip(NEXT) | instid1(VALU_DEP_1)
	v_mul_u64_e32 v[0:1], 24, v[0:1]
	v_add_nc_u64_e32 v[14:15], v[26:27], v[0:1]
	global_store_b64 v[14:15], v[18:19], off
	global_wb scope:SCOPE_SYS
	s_wait_storecnt 0x0
	s_wait_xcnt 0x0
	global_atomic_cmpswap_b64 v[2:3], v11, v[16:19], s[2:3] offset:32 th:TH_ATOMIC_RETURN scope:SCOPE_SYS
	s_wait_loadcnt 0x0
	v_cmpx_ne_u64_e64 v[2:3], v[18:19]
	s_cbranch_execz .LBB1_71
; %bb.69:                               ;   in Loop: Header=BB1_3 Depth=1
	s_mov_b32 s12, 0
.LBB1_70:                               ;   Parent Loop BB1_3 Depth=1
                                        ; =>  This Inner Loop Header: Depth=2
	v_dual_mov_b32 v0, s4 :: v_dual_mov_b32 v1, s5
	s_sleep 1
	global_store_b64 v[14:15], v[2:3], off
	global_wb scope:SCOPE_SYS
	s_wait_storecnt 0x0
	s_wait_xcnt 0x0
	global_atomic_cmpswap_b64 v[0:1], v11, v[0:3], s[2:3] offset:32 th:TH_ATOMIC_RETURN scope:SCOPE_SYS
	s_wait_loadcnt 0x0
	v_cmp_eq_u64_e32 vcc_lo, v[0:1], v[2:3]
	v_mov_b64_e32 v[2:3], v[0:1]
	s_or_b32 s12, vcc_lo, s12
	s_delay_alu instid0(SALU_CYCLE_1)
	s_and_not1_b32 exec_lo, exec_lo, s12
	s_cbranch_execnz .LBB1_70
.LBB1_71:                               ;   in Loop: Header=BB1_3 Depth=1
	s_or_b32 exec_lo, exec_lo, s11
	global_load_b64 v[0:1], v11, s[2:3] offset:16
	s_mov_b32 s12, exec_lo
	s_mov_b32 s11, exec_lo
	v_mbcnt_lo_u32_b32 v2, s12, 0
	s_wait_xcnt 0x0
	s_delay_alu instid0(VALU_DEP_1)
	v_cmpx_eq_u32_e32 0, v2
	s_cbranch_execz .LBB1_73
; %bb.72:                               ;   in Loop: Header=BB1_3 Depth=1
	s_bcnt1_i32_b32 s12, s12
	s_delay_alu instid0(SALU_CYCLE_1)
	v_dual_mov_b32 v3, v11 :: v_dual_mov_b32 v2, s12
	global_wb scope:SCOPE_SYS
	s_wait_loadcnt 0x0
	s_wait_storecnt 0x0
	global_atomic_add_u64 v[0:1], v[2:3], off offset:8 scope:SCOPE_SYS
.LBB1_73:                               ;   in Loop: Header=BB1_3 Depth=1
	s_wait_xcnt 0x0
	s_or_b32 exec_lo, exec_lo, s11
	s_wait_loadcnt 0x0
	global_load_b64 v[2:3], v[0:1], off offset:16
	s_wait_loadcnt 0x0
	v_cmp_eq_u64_e32 vcc_lo, 0, v[2:3]
	s_cbranch_vccnz .LBB1_75
; %bb.74:                               ;   in Loop: Header=BB1_3 Depth=1
	global_load_b32 v0, v[0:1], off offset:24
	s_wait_xcnt 0x0
	v_mov_b32_e32 v1, v11
	s_wait_loadcnt 0x0
	v_readfirstlane_b32 s11, v0
	global_wb scope:SCOPE_SYS
	s_wait_storecnt 0x0
	global_store_b64 v[2:3], v[0:1], off scope:SCOPE_SYS
	s_and_b32 m0, s11, 0xffffff
	s_sendmsg sendmsg(MSG_INTERRUPT)
.LBB1_75:                               ;   in Loop: Header=BB1_3 Depth=1
	s_wait_xcnt 0x0
	s_or_b32 exec_lo, exec_lo, s1
	v_add_nc_u64_e32 v[0:1], v[28:29], v[10:11]
	s_branch .LBB1_79
.LBB1_76:                               ;   in Loop: Header=BB1_79 Depth=2
	s_wait_xcnt 0x0
	s_or_b32 exec_lo, exec_lo, s1
	s_delay_alu instid0(VALU_DEP_1)
	v_readfirstlane_b32 s1, v2
	s_cmp_eq_u32 s1, 0
	s_cbranch_scc1 .LBB1_78
; %bb.77:                               ;   in Loop: Header=BB1_79 Depth=2
	s_sleep 1
	s_cbranch_execnz .LBB1_79
	s_branch .LBB1_81
.LBB1_78:                               ;   in Loop: Header=BB1_3 Depth=1
	s_branch .LBB1_81
.LBB1_79:                               ;   Parent Loop BB1_3 Depth=1
                                        ; =>  This Inner Loop Header: Depth=2
	v_mov_b32_e32 v2, 1
	s_and_saveexec_b32 s1, s0
	s_cbranch_execz .LBB1_76
; %bb.80:                               ;   in Loop: Header=BB1_79 Depth=2
	global_load_b32 v2, v[34:35], off offset:20 scope:SCOPE_SYS
	s_wait_loadcnt 0x0
	global_inv scope:SCOPE_SYS
	v_and_b32_e32 v2, 1, v2
	s_branch .LBB1_76
.LBB1_81:                               ;   in Loop: Header=BB1_3 Depth=1
	global_load_b128 v[0:3], v[0:1], off
	s_wait_xcnt 0x0
	s_and_saveexec_b32 s11, s0
	s_cbranch_execz .LBB1_2
; %bb.82:                               ;   in Loop: Header=BB1_3 Depth=1
	s_wait_loadcnt 0x0
	s_clause 0x2
	global_load_b64 v[2:3], v11, s[2:3] offset:40
	global_load_b64 v[18:19], v11, s[2:3] offset:24 scope:SCOPE_SYS
	global_load_b64 v[14:15], v11, s[2:3]
	s_wait_loadcnt 0x2
	v_readfirstlane_b32 s12, v2
	v_readfirstlane_b32 s13, v3
	s_add_nc_u64 s[0:1], s[12:13], 1
	s_delay_alu instid0(SALU_CYCLE_1) | instskip(NEXT) | instid1(SALU_CYCLE_1)
	s_add_nc_u64 s[4:5], s[0:1], s[4:5]
	s_cmp_eq_u64 s[4:5], 0
	s_cselect_b32 s1, s1, s5
	s_cselect_b32 s0, s0, s4
	s_delay_alu instid0(SALU_CYCLE_1) | instskip(SKIP_1) | instid1(SALU_CYCLE_1)
	v_dual_mov_b32 v17, s1 :: v_dual_mov_b32 v16, s0
	s_and_b64 s[4:5], s[0:1], s[12:13]
	s_mul_u64 s[4:5], s[4:5], 24
	s_wait_loadcnt 0x0
	v_add_nc_u64_e32 v[2:3], s[4:5], v[14:15]
	global_store_b64 v[2:3], v[18:19], off
	global_wb scope:SCOPE_SYS
	s_wait_storecnt 0x0
	s_wait_xcnt 0x0
	global_atomic_cmpswap_b64 v[16:17], v11, v[16:19], s[2:3] offset:24 th:TH_ATOMIC_RETURN scope:SCOPE_SYS
	s_wait_loadcnt 0x0
	v_cmp_ne_u64_e32 vcc_lo, v[16:17], v[18:19]
	s_and_b32 exec_lo, exec_lo, vcc_lo
	s_cbranch_execz .LBB1_2
; %bb.83:                               ;   in Loop: Header=BB1_3 Depth=1
	s_mov_b32 s4, 0
.LBB1_84:                               ;   Parent Loop BB1_3 Depth=1
                                        ; =>  This Inner Loop Header: Depth=2
	v_dual_mov_b32 v14, s0 :: v_dual_mov_b32 v15, s1
	s_sleep 1
	global_store_b64 v[2:3], v[16:17], off
	global_wb scope:SCOPE_SYS
	s_wait_storecnt 0x0
	s_wait_xcnt 0x0
	global_atomic_cmpswap_b64 v[14:15], v11, v[14:17], s[2:3] offset:24 th:TH_ATOMIC_RETURN scope:SCOPE_SYS
	s_wait_loadcnt 0x0
	v_cmp_eq_u64_e32 vcc_lo, v[14:15], v[16:17]
	v_mov_b64_e32 v[16:17], v[14:15]
	s_or_b32 s4, vcc_lo, s4
	s_delay_alu instid0(SALU_CYCLE_1)
	s_and_not1_b32 exec_lo, exec_lo, s4
	s_cbranch_execnz .LBB1_84
	s_branch .LBB1_2
.LBB1_85:
	s_or_b32 exec_lo, exec_lo, s10
                                        ; implicit-def: $vgpr0
                                        ; implicit-def: $vgpr30
                                        ; implicit-def: $vgpr1
.LBB1_86:
	s_and_not1_saveexec_b32 s6, s6
	s_cbranch_execz .LBB1_108
; %bb.87:
	s_load_b64 s[2:3], s[8:9], 0x50
	v_readfirstlane_b32 s0, v30
	v_mov_b64_e32 v[8:9], 0
	s_delay_alu instid0(VALU_DEP_2)
	v_cmp_eq_u32_e64 s0, s0, v30
	s_and_saveexec_b32 s1, s0
	s_cbranch_execz .LBB1_93
; %bb.88:
	s_wait_loadcnt 0x0
	v_mov_b32_e32 v2, 0
	s_mov_b32 s4, exec_lo
	s_wait_kmcnt 0x0
	global_load_b64 v[6:7], v2, s[2:3] offset:24 scope:SCOPE_SYS
	s_wait_loadcnt 0x0
	global_inv scope:SCOPE_SYS
	s_clause 0x1
	global_load_b64 v[4:5], v2, s[2:3] offset:40
	global_load_b64 v[8:9], v2, s[2:3]
	s_wait_loadcnt 0x1
	v_and_b32_e32 v4, v4, v6
	v_and_b32_e32 v5, v5, v7
	s_delay_alu instid0(VALU_DEP_1) | instskip(SKIP_1) | instid1(VALU_DEP_1)
	v_mul_u64_e32 v[4:5], 24, v[4:5]
	s_wait_loadcnt 0x0
	v_add_nc_u64_e32 v[4:5], v[8:9], v[4:5]
	global_load_b64 v[4:5], v[4:5], off scope:SCOPE_SYS
	s_wait_xcnt 0x0
	s_wait_loadcnt 0x0
	global_atomic_cmpswap_b64 v[8:9], v2, v[4:7], s[2:3] offset:24 th:TH_ATOMIC_RETURN scope:SCOPE_SYS
	s_wait_loadcnt 0x0
	global_inv scope:SCOPE_SYS
	s_wait_xcnt 0x0
	v_cmpx_ne_u64_e64 v[8:9], v[6:7]
	s_cbranch_execz .LBB1_92
; %bb.89:
	s_mov_b32 s5, 0
.LBB1_90:                               ; =>This Inner Loop Header: Depth=1
	s_sleep 1
	s_clause 0x1
	global_load_b64 v[4:5], v2, s[2:3] offset:40
	global_load_b64 v[10:11], v2, s[2:3]
	v_mov_b64_e32 v[6:7], v[8:9]
	s_wait_loadcnt 0x1
	s_delay_alu instid0(VALU_DEP_1) | instskip(SKIP_1) | instid1(VALU_DEP_1)
	v_and_b32_e32 v3, v4, v6
	s_wait_loadcnt 0x0
	v_mad_nc_u64_u32 v[8:9], v3, 24, v[10:11]
	s_delay_alu instid0(VALU_DEP_3) | instskip(NEXT) | instid1(VALU_DEP_1)
	v_and_b32_e32 v3, v5, v7
	v_mad_u32 v9, v3, 24, v9
	global_load_b64 v[4:5], v[8:9], off scope:SCOPE_SYS
	s_wait_xcnt 0x0
	s_wait_loadcnt 0x0
	global_atomic_cmpswap_b64 v[8:9], v2, v[4:7], s[2:3] offset:24 th:TH_ATOMIC_RETURN scope:SCOPE_SYS
	s_wait_loadcnt 0x0
	global_inv scope:SCOPE_SYS
	v_cmp_eq_u64_e32 vcc_lo, v[8:9], v[6:7]
	s_or_b32 s5, vcc_lo, s5
	s_wait_xcnt 0x0
	s_and_not1_b32 exec_lo, exec_lo, s5
	s_cbranch_execnz .LBB1_90
; %bb.91:
	s_or_b32 exec_lo, exec_lo, s5
.LBB1_92:
	s_delay_alu instid0(SALU_CYCLE_1)
	s_or_b32 exec_lo, exec_lo, s4
.LBB1_93:
	s_delay_alu instid0(SALU_CYCLE_1)
	s_or_b32 exec_lo, exec_lo, s1
	v_readfirstlane_b32 s4, v8
	s_wait_loadcnt 0x0
	v_mov_b32_e32 v2, 0
	v_readfirstlane_b32 s5, v9
	s_mov_b32 s1, exec_lo
	s_wait_kmcnt 0x0
	s_clause 0x1
	global_load_b64 v[10:11], v2, s[2:3] offset:40
	global_load_b128 v[4:7], v2, s[2:3]
	s_wait_loadcnt 0x1
	v_and_b32_e32 v10, s4, v10
	v_and_b32_e32 v11, s5, v11
	s_delay_alu instid0(VALU_DEP_1) | instskip(SKIP_1) | instid1(VALU_DEP_1)
	v_mul_u64_e32 v[8:9], 24, v[10:11]
	s_wait_loadcnt 0x0
	v_add_nc_u64_e32 v[8:9], v[4:5], v[8:9]
	s_wait_xcnt 0x0
	s_and_saveexec_b32 s7, s0
	s_cbranch_execz .LBB1_95
; %bb.94:
	v_mov_b64_e32 v[14:15], 0x100000002
	v_dual_mov_b32 v12, s1 :: v_dual_mov_b32 v13, v2
	global_store_b128 v[8:9], v[12:15], off offset:8
.LBB1_95:
	s_wait_xcnt 0x0
	s_or_b32 exec_lo, exec_lo, s7
	v_lshlrev_b64_e32 v[10:11], 12, v[10:11]
	s_mov_b32 s8, 0
	v_and_or_b32 v0, 0xffffff1f, v0, 32
	s_mov_b32 s10, s8
	s_mov_b32 s11, s8
	s_mov_b32 s9, s8
	v_dual_mov_b32 v3, v2 :: v_dual_lshlrev_b32 v14, 6, v30
	v_add_nc_u64_e32 v[6:7], v[6:7], v[10:11]
	v_mov_b64_e32 v[12:13], s[10:11]
	v_mov_b64_e32 v[10:11], s[8:9]
	s_delay_alu instid0(VALU_DEP_3) | instskip(NEXT) | instid1(VALU_DEP_4)
	v_readfirstlane_b32 s12, v6
	v_readfirstlane_b32 s13, v7
	s_clause 0x3
	global_store_b128 v14, v[0:3], s[12:13]
	global_store_b128 v14, v[10:13], s[12:13] offset:16
	global_store_b128 v14, v[10:13], s[12:13] offset:32
	;; [unrolled: 1-line block ×3, first 2 shown]
	s_wait_xcnt 0x0
	s_and_saveexec_b32 s1, s0
	s_cbranch_execz .LBB1_102
; %bb.96:
	v_dual_mov_b32 v6, 0 :: v_dual_mov_b32 v11, s5
	s_mov_b32 s7, exec_lo
	s_clause 0x1
	global_load_b64 v[12:13], v6, s[2:3] offset:32 scope:SCOPE_SYS
	global_load_b64 v[0:1], v6, s[2:3] offset:40
	s_wait_loadcnt 0x0
	v_dual_mov_b32 v10, s4 :: v_dual_bitop2_b32 v1, s5, v1 bitop3:0x40
	v_and_b32_e32 v0, s4, v0
	s_delay_alu instid0(VALU_DEP_1) | instskip(NEXT) | instid1(VALU_DEP_1)
	v_mul_u64_e32 v[0:1], 24, v[0:1]
	v_add_nc_u64_e32 v[4:5], v[4:5], v[0:1]
	global_store_b64 v[4:5], v[12:13], off
	global_wb scope:SCOPE_SYS
	s_wait_storecnt 0x0
	s_wait_xcnt 0x0
	global_atomic_cmpswap_b64 v[2:3], v6, v[10:13], s[2:3] offset:32 th:TH_ATOMIC_RETURN scope:SCOPE_SYS
	s_wait_loadcnt 0x0
	v_cmpx_ne_u64_e64 v[2:3], v[12:13]
	s_cbranch_execz .LBB1_98
.LBB1_97:                               ; =>This Inner Loop Header: Depth=1
	v_dual_mov_b32 v0, s4 :: v_dual_mov_b32 v1, s5
	s_sleep 1
	global_store_b64 v[4:5], v[2:3], off
	global_wb scope:SCOPE_SYS
	s_wait_storecnt 0x0
	s_wait_xcnt 0x0
	global_atomic_cmpswap_b64 v[0:1], v6, v[0:3], s[2:3] offset:32 th:TH_ATOMIC_RETURN scope:SCOPE_SYS
	s_wait_loadcnt 0x0
	v_cmp_eq_u64_e32 vcc_lo, v[0:1], v[2:3]
	v_mov_b64_e32 v[2:3], v[0:1]
	s_or_b32 s8, vcc_lo, s8
	s_delay_alu instid0(SALU_CYCLE_1)
	s_and_not1_b32 exec_lo, exec_lo, s8
	s_cbranch_execnz .LBB1_97
.LBB1_98:
	s_or_b32 exec_lo, exec_lo, s7
	v_mov_b32_e32 v3, 0
	s_mov_b32 s8, exec_lo
	s_mov_b32 s7, exec_lo
	v_mbcnt_lo_u32_b32 v2, s8, 0
	global_load_b64 v[0:1], v3, s[2:3] offset:16
	s_wait_xcnt 0x0
	v_cmpx_eq_u32_e32 0, v2
	s_cbranch_execz .LBB1_100
; %bb.99:
	s_bcnt1_i32_b32 s8, s8
	s_delay_alu instid0(SALU_CYCLE_1)
	v_mov_b32_e32 v2, s8
	global_wb scope:SCOPE_SYS
	s_wait_loadcnt 0x0
	s_wait_storecnt 0x0
	global_atomic_add_u64 v[0:1], v[2:3], off offset:8 scope:SCOPE_SYS
.LBB1_100:
	s_wait_xcnt 0x0
	s_or_b32 exec_lo, exec_lo, s7
	s_wait_loadcnt 0x0
	global_load_b64 v[2:3], v[0:1], off offset:16
	s_wait_loadcnt 0x0
	v_cmp_eq_u64_e32 vcc_lo, 0, v[2:3]
	s_cbranch_vccnz .LBB1_102
; %bb.101:
	global_load_b32 v0, v[0:1], off offset:24
	s_wait_xcnt 0x0
	v_mov_b32_e32 v1, 0
	s_wait_loadcnt 0x0
	v_readfirstlane_b32 s7, v0
	global_wb scope:SCOPE_SYS
	s_wait_storecnt 0x0
	global_store_b64 v[2:3], v[0:1], off scope:SCOPE_SYS
	s_and_b32 m0, s7, 0xffffff
	s_sendmsg sendmsg(MSG_INTERRUPT)
.LBB1_102:
	s_wait_xcnt 0x0
	s_or_b32 exec_lo, exec_lo, s1
	s_branch .LBB1_106
.LBB1_103:                              ;   in Loop: Header=BB1_106 Depth=1
	s_wait_xcnt 0x0
	s_or_b32 exec_lo, exec_lo, s1
	s_delay_alu instid0(VALU_DEP_1)
	v_readfirstlane_b32 s1, v0
	s_cmp_eq_u32 s1, 0
	s_cbranch_scc1 .LBB1_105
; %bb.104:                              ;   in Loop: Header=BB1_106 Depth=1
	s_sleep 1
	s_cbranch_execnz .LBB1_106
	s_branch .LBB1_109
.LBB1_105:
	s_branch .LBB1_109
.LBB1_106:                              ; =>This Inner Loop Header: Depth=1
	v_mov_b32_e32 v0, 1
	s_and_saveexec_b32 s1, s0
	s_cbranch_execz .LBB1_103
; %bb.107:                              ;   in Loop: Header=BB1_106 Depth=1
	global_load_b32 v0, v[8:9], off offset:20 scope:SCOPE_SYS
	s_wait_loadcnt 0x0
	global_inv scope:SCOPE_SYS
	v_and_b32_e32 v0, 1, v0
	s_branch .LBB1_103
.LBB1_108:
	s_or_b32 exec_lo, exec_lo, s6
	s_wait_loadcnt 0x0
	s_wait_kmcnt 0x0
	s_set_pc_i64 s[30:31]
.LBB1_109:
	s_and_saveexec_b32 s7, s0
	s_cbranch_execz .LBB1_113
; %bb.110:
	v_mov_b32_e32 v6, 0
	s_clause 0x2
	global_load_b64 v[0:1], v6, s[2:3] offset:40
	global_load_b64 v[10:11], v6, s[2:3] offset:24 scope:SCOPE_SYS
	global_load_b64 v[2:3], v6, s[2:3]
	s_wait_loadcnt 0x2
	v_readfirstlane_b32 s8, v0
	v_readfirstlane_b32 s9, v1
	s_add_nc_u64 s[0:1], s[8:9], 1
	s_delay_alu instid0(SALU_CYCLE_1) | instskip(NEXT) | instid1(SALU_CYCLE_1)
	s_add_nc_u64 s[4:5], s[0:1], s[4:5]
	s_cmp_eq_u64 s[4:5], 0
	s_cselect_b32 s1, s1, s5
	s_cselect_b32 s0, s0, s4
	v_mov_b32_e32 v9, s1
	s_and_b64 s[4:5], s[0:1], s[8:9]
	v_mov_b32_e32 v8, s0
	s_mul_u64 s[4:5], s[4:5], 24
	s_wait_loadcnt 0x0
	v_add_nc_u64_e32 v[4:5], s[4:5], v[2:3]
	global_store_b64 v[4:5], v[10:11], off
	global_wb scope:SCOPE_SYS
	s_wait_storecnt 0x0
	s_wait_xcnt 0x0
	global_atomic_cmpswap_b64 v[2:3], v6, v[8:11], s[2:3] offset:24 th:TH_ATOMIC_RETURN scope:SCOPE_SYS
	s_wait_loadcnt 0x0
	v_cmp_ne_u64_e32 vcc_lo, v[2:3], v[10:11]
	s_and_b32 exec_lo, exec_lo, vcc_lo
	s_cbranch_execz .LBB1_113
; %bb.111:
	s_mov_b32 s4, 0
.LBB1_112:                              ; =>This Inner Loop Header: Depth=1
	v_dual_mov_b32 v0, s0 :: v_dual_mov_b32 v1, s1
	s_sleep 1
	global_store_b64 v[4:5], v[2:3], off
	global_wb scope:SCOPE_SYS
	s_wait_storecnt 0x0
	s_wait_xcnt 0x0
	global_atomic_cmpswap_b64 v[0:1], v6, v[0:3], s[2:3] offset:24 th:TH_ATOMIC_RETURN scope:SCOPE_SYS
	s_wait_loadcnt 0x0
	v_cmp_eq_u64_e32 vcc_lo, v[0:1], v[2:3]
	v_mov_b64_e32 v[2:3], v[0:1]
	s_or_b32 s4, vcc_lo, s4
	s_delay_alu instid0(SALU_CYCLE_1)
	s_and_not1_b32 exec_lo, exec_lo, s4
	s_cbranch_execnz .LBB1_112
.LBB1_113:
	s_or_b32 exec_lo, exec_lo, s7
	s_delay_alu instid0(SALU_CYCLE_1)
	s_or_b32 exec_lo, exec_lo, s6
	s_wait_loadcnt 0x0
	s_wait_kmcnt 0x0
	s_set_pc_i64 s[30:31]
.Lfunc_end1:
	.size	__ockl_fprintf_append_string_n, .Lfunc_end1-__ockl_fprintf_append_string_n
                                        ; -- End function
	.set .L__ockl_fprintf_append_string_n.num_vgpr, 38
	.set .L__ockl_fprintf_append_string_n.num_agpr, 0
	.set .L__ockl_fprintf_append_string_n.numbered_sgpr, 32
	.set .L__ockl_fprintf_append_string_n.num_named_barrier, 0
	.set .L__ockl_fprintf_append_string_n.private_seg_size, 0
	.set .L__ockl_fprintf_append_string_n.uses_vcc, 1
	.set .L__ockl_fprintf_append_string_n.uses_flat_scratch, 0
	.set .L__ockl_fprintf_append_string_n.has_dyn_sized_stack, 0
	.set .L__ockl_fprintf_append_string_n.has_recursion, 0
	.set .L__ockl_fprintf_append_string_n.has_indirect_call, 0
	.section	.AMDGPU.csdata,"",@progbits
; Function info:
; codeLenInByte = 4324
; TotalNumSgprs: 34
; NumVgprs: 38
; ScratchSize: 0
; MemoryBound: 0
	.text
	.p2align	2                               ; -- Begin function __assert_fail
	.type	__assert_fail,@function
__assert_fail:                          ; @__assert_fail
; %bb.0:
	s_wait_loadcnt_dscnt 0x0
	s_wait_kmcnt 0x0
	s_mov_b32 s16, s33
	s_mov_b32 s33, s32
	s_or_saveexec_b32 s0, -1
	scratch_store_b32 off, v40, s33 offset:48 ; 4-byte Folded Spill
	s_wait_xcnt 0x0
	s_mov_b32 exec_lo, s0
	v_writelane_b32 v40, s30, 0
	s_add_co_i32 s32, s32, 64
	v_writelane_b32 v40, s31, 1
	v_dual_mov_b32 v37, v6 :: v_dual_mov_b32 v36, v5
	v_mov_b32_e32 v5, 0
	s_get_pc_i64 s[0:1]
	s_add_nc_u64 s[0:1], s[0:1], __const.__assert_fail.fmt@rel64+35
	s_get_pc_i64 s[10:11]
	s_add_nc_u64 s[10:11], s[10:11], __const.__assert_fail.fmt@rel64+20
	v_mbcnt_lo_u32_b32 v54, -1, 0
	v_dual_mov_b32 v7, v1 :: v_dual_mov_b32 v6, v0
	global_load_b128 v[8:11], v5, s[0:1]
	s_wait_xcnt 0x0
	s_get_pc_i64 s[0:1]
	s_add_nc_u64 s[0:1], s[0:1], __const.__assert_fail.fmt@rel64+4
	s_clause 0x1
	s_load_b128 s[4:7], s[0:1], 0x0
	s_load_b128 s[12:15], s[10:11], 0x0
	s_load_b64 s[2:3], s[8:9], 0x50
	s_wait_xcnt 0x0
	v_readfirstlane_b32 s0, v54
	v_mov_b64_e32 v[0:1], 0
	s_delay_alu instid0(VALU_DEP_2)
	v_cmp_eq_u32_e64 s0, s0, v54
	s_wait_kmcnt 0x0
	v_mov_b64_e32 v[14:15], s[6:7]
	v_mov_b64_e32 v[12:13], s[4:5]
	;; [unrolled: 1-line block ×4, first 2 shown]
	s_clause 0x1
	scratch_store_b128 off, v[12:15], s33
	scratch_store_b128 off, v[16:19], s33 offset:16
	s_wait_loadcnt 0x0
	scratch_store_b128 off, v[8:11], s33 offset:31
	s_wait_xcnt 0x0
	s_and_saveexec_b32 s1, s0
	s_cbranch_execz .LBB2_6
; %bb.1:
	global_load_b64 v[10:11], v5, s[2:3] offset:24 scope:SCOPE_SYS
	s_wait_loadcnt 0x0
	global_inv scope:SCOPE_SYS
	s_clause 0x1
	global_load_b64 v[0:1], v5, s[2:3] offset:40
	global_load_b64 v[8:9], v5, s[2:3]
	s_mov_b32 s4, exec_lo
	s_wait_loadcnt 0x1
	v_and_b32_e32 v0, v0, v10
	v_and_b32_e32 v1, v1, v11
	s_delay_alu instid0(VALU_DEP_1) | instskip(SKIP_1) | instid1(VALU_DEP_1)
	v_mul_u64_e32 v[0:1], 24, v[0:1]
	s_wait_loadcnt 0x0
	v_add_nc_u64_e32 v[0:1], v[8:9], v[0:1]
	global_load_b64 v[8:9], v[0:1], off scope:SCOPE_SYS
	s_wait_xcnt 0x0
	s_wait_loadcnt 0x0
	global_atomic_cmpswap_b64 v[0:1], v5, v[8:11], s[2:3] offset:24 th:TH_ATOMIC_RETURN scope:SCOPE_SYS
	s_wait_loadcnt 0x0
	global_inv scope:SCOPE_SYS
	s_wait_xcnt 0x0
	v_cmpx_ne_u64_e64 v[0:1], v[10:11]
	s_cbranch_execz .LBB2_5
; %bb.2:
	v_mov_b32_e32 v8, 0
	s_mov_b32 s5, 0
.LBB2_3:                                ; =>This Inner Loop Header: Depth=1
	s_sleep 1
	s_clause 0x1
	global_load_b64 v[10:11], v8, s[2:3] offset:40
	global_load_b64 v[14:15], v8, s[2:3]
	v_mov_b64_e32 v[12:13], v[0:1]
	s_wait_loadcnt 0x1
	s_delay_alu instid0(VALU_DEP_1) | instskip(NEXT) | instid1(VALU_DEP_2)
	v_and_b32_e32 v0, v10, v12
	v_and_b32_e32 v9, v11, v13
	s_wait_loadcnt 0x0
	s_delay_alu instid0(VALU_DEP_2) | instskip(NEXT) | instid1(VALU_DEP_1)
	v_mad_nc_u64_u32 v[0:1], v0, 24, v[14:15]
	v_mad_u32 v1, v9, 24, v1
	global_load_b64 v[10:11], v[0:1], off scope:SCOPE_SYS
	s_wait_xcnt 0x0
	s_wait_loadcnt 0x0
	global_atomic_cmpswap_b64 v[0:1], v8, v[10:13], s[2:3] offset:24 th:TH_ATOMIC_RETURN scope:SCOPE_SYS
	s_wait_loadcnt 0x0
	global_inv scope:SCOPE_SYS
	v_cmp_eq_u64_e32 vcc_lo, v[0:1], v[12:13]
	s_or_b32 s5, vcc_lo, s5
	s_wait_xcnt 0x0
	s_and_not1_b32 exec_lo, exec_lo, s5
	s_cbranch_execnz .LBB2_3
; %bb.4:
	s_or_b32 exec_lo, exec_lo, s5
.LBB2_5:
	s_delay_alu instid0(SALU_CYCLE_1)
	s_or_b32 exec_lo, exec_lo, s4
.LBB2_6:
	s_delay_alu instid0(SALU_CYCLE_1)
	s_or_b32 exec_lo, exec_lo, s1
	s_clause 0x1
	global_load_b64 v[12:13], v5, s[2:3] offset:40
	global_load_b128 v[8:11], v5, s[2:3]
	v_readfirstlane_b32 s4, v0
	v_readfirstlane_b32 s5, v1
	s_mov_b32 s1, exec_lo
	s_wait_loadcnt 0x1
	v_and_b32_e32 v12, s4, v12
	v_and_b32_e32 v13, s5, v13
	s_delay_alu instid0(VALU_DEP_1) | instskip(SKIP_1) | instid1(VALU_DEP_1)
	v_mul_u64_e32 v[0:1], 24, v[12:13]
	s_wait_loadcnt 0x0
	v_add_nc_u64_e32 v[0:1], v[8:9], v[0:1]
	s_wait_xcnt 0x0
	s_and_saveexec_b32 s6, s0
	s_cbranch_execz .LBB2_8
; %bb.7:
	v_mov_b64_e32 v[16:17], 0x100000002
	v_dual_mov_b32 v14, s1 :: v_dual_mov_b32 v15, 0
	global_store_b128 v[0:1], v[14:17], off offset:8
.LBB2_8:
	s_wait_xcnt 0x0
	s_or_b32 exec_lo, exec_lo, s6
	v_lshlrev_b64_e32 v[12:13], 12, v[12:13]
	s_mov_b32 s12, 0
	v_dual_mov_b32 v35, 0 :: v_dual_lshlrev_b32 v34, 6, v54
	s_mov_b32 s14, s12
	s_mov_b32 s15, s12
	;; [unrolled: 1-line block ×3, first 2 shown]
	s_delay_alu instid0(VALU_DEP_2)
	v_add_nc_u64_e32 v[12:13], v[10:11], v[12:13]
	v_mov_b64_e32 v[20:21], s[14:15]
	v_mov_b64_e32 v[18:19], s[12:13]
	v_dual_mov_b32 v14, 33 :: v_dual_mov_b32 v16, 1
	v_dual_mov_b32 v15, v35 :: v_dual_mov_b32 v17, v35
	v_readfirstlane_b32 s6, v12
	v_readfirstlane_b32 s7, v13
	s_clause 0x3
	global_store_b128 v34, v[14:17], s[6:7]
	global_store_b128 v34, v[18:21], s[6:7] offset:16
	global_store_b128 v34, v[18:21], s[6:7] offset:32
	;; [unrolled: 1-line block ×3, first 2 shown]
	s_wait_xcnt 0x0
	s_and_saveexec_b32 s1, s0
	s_cbranch_execz .LBB2_16
; %bb.9:
	s_clause 0x1
	global_load_b64 v[18:19], v35, s[2:3] offset:32 scope:SCOPE_SYS
	global_load_b64 v[10:11], v35, s[2:3] offset:40
	s_mov_b32 s6, exec_lo
	v_dual_mov_b32 v16, s4 :: v_dual_mov_b32 v17, s5
	s_wait_loadcnt 0x0
	v_and_b32_e32 v11, s5, v11
	v_and_b32_e32 v10, s4, v10
	s_delay_alu instid0(VALU_DEP_1) | instskip(NEXT) | instid1(VALU_DEP_1)
	v_mul_u64_e32 v[10:11], 24, v[10:11]
	v_add_nc_u64_e32 v[14:15], v[8:9], v[10:11]
	global_store_b64 v[14:15], v[18:19], off
	global_wb scope:SCOPE_SYS
	s_wait_storecnt 0x0
	s_wait_xcnt 0x0
	global_atomic_cmpswap_b64 v[10:11], v35, v[16:19], s[2:3] offset:32 th:TH_ATOMIC_RETURN scope:SCOPE_SYS
	s_wait_loadcnt 0x0
	v_cmpx_ne_u64_e64 v[10:11], v[18:19]
	s_cbranch_execz .LBB2_12
; %bb.10:
	v_mov_b32_e32 v5, 0
	s_mov_b32 s7, 0
.LBB2_11:                               ; =>This Inner Loop Header: Depth=1
	v_dual_mov_b32 v8, s4 :: v_dual_mov_b32 v9, s5
	s_sleep 1
	global_store_b64 v[14:15], v[10:11], off
	global_wb scope:SCOPE_SYS
	s_wait_storecnt 0x0
	s_wait_xcnt 0x0
	global_atomic_cmpswap_b64 v[8:9], v5, v[8:11], s[2:3] offset:32 th:TH_ATOMIC_RETURN scope:SCOPE_SYS
	s_wait_loadcnt 0x0
	v_cmp_eq_u64_e32 vcc_lo, v[8:9], v[10:11]
	v_mov_b64_e32 v[10:11], v[8:9]
	s_or_b32 s7, vcc_lo, s7
	s_delay_alu instid0(SALU_CYCLE_1)
	s_and_not1_b32 exec_lo, exec_lo, s7
	s_cbranch_execnz .LBB2_11
.LBB2_12:
	s_or_b32 exec_lo, exec_lo, s6
	v_mov_b32_e32 v11, 0
	s_mov_b32 s7, exec_lo
	s_mov_b32 s6, exec_lo
	v_mbcnt_lo_u32_b32 v5, s7, 0
	global_load_b64 v[8:9], v11, s[2:3] offset:16
	s_wait_xcnt 0x0
	v_cmpx_eq_u32_e32 0, v5
	s_cbranch_execz .LBB2_14
; %bb.13:
	s_bcnt1_i32_b32 s7, s7
	s_delay_alu instid0(SALU_CYCLE_1)
	v_mov_b32_e32 v10, s7
	global_wb scope:SCOPE_SYS
	s_wait_loadcnt 0x0
	s_wait_storecnt 0x0
	global_atomic_add_u64 v[8:9], v[10:11], off offset:8 scope:SCOPE_SYS
.LBB2_14:
	s_wait_xcnt 0x0
	s_or_b32 exec_lo, exec_lo, s6
	s_wait_loadcnt 0x0
	global_load_b64 v[10:11], v[8:9], off offset:16
	s_wait_loadcnt 0x0
	v_cmp_eq_u64_e32 vcc_lo, 0, v[10:11]
	s_cbranch_vccnz .LBB2_16
; %bb.15:
	global_load_b32 v8, v[8:9], off offset:24
	s_wait_xcnt 0x0
	v_mov_b32_e32 v9, 0
	s_wait_loadcnt 0x0
	v_readfirstlane_b32 s6, v8
	global_wb scope:SCOPE_SYS
	s_wait_storecnt 0x0
	global_store_b64 v[10:11], v[8:9], off scope:SCOPE_SYS
	s_and_b32 m0, s6, 0xffffff
	s_sendmsg sendmsg(MSG_INTERRUPT)
.LBB2_16:
	s_wait_xcnt 0x0
	s_or_b32 exec_lo, exec_lo, s1
	v_add_nc_u64_e32 v[8:9], v[12:13], v[34:35]
	s_branch .LBB2_20
.LBB2_17:                               ;   in Loop: Header=BB2_20 Depth=1
	s_wait_xcnt 0x0
	s_or_b32 exec_lo, exec_lo, s1
	s_delay_alu instid0(VALU_DEP_1)
	v_readfirstlane_b32 s1, v5
	s_cmp_eq_u32 s1, 0
	s_cbranch_scc1 .LBB2_19
; %bb.18:                               ;   in Loop: Header=BB2_20 Depth=1
	s_sleep 1
	s_cbranch_execnz .LBB2_20
	s_branch .LBB2_22
.LBB2_19:
	s_branch .LBB2_22
.LBB2_20:                               ; =>This Inner Loop Header: Depth=1
	v_mov_b32_e32 v5, 1
	s_and_saveexec_b32 s1, s0
	s_cbranch_execz .LBB2_17
; %bb.21:                               ;   in Loop: Header=BB2_20 Depth=1
	global_load_b32 v5, v[0:1], off offset:20 scope:SCOPE_SYS
	s_wait_loadcnt 0x0
	global_inv scope:SCOPE_SYS
	v_and_b32_e32 v5, 1, v5
	s_branch .LBB2_17
.LBB2_22:
	global_load_b64 v[12:13], v[8:9], off
	s_wait_xcnt 0x0
	s_and_saveexec_b32 s6, s0
	s_cbranch_execz .LBB2_26
; %bb.23:
	v_mov_b32_e32 v5, 0
	s_clause 0x2
	global_load_b64 v[0:1], v5, s[2:3] offset:40
	global_load_b64 v[16:17], v5, s[2:3] offset:24 scope:SCOPE_SYS
	global_load_b64 v[8:9], v5, s[2:3]
	s_wait_loadcnt 0x2
	v_readfirstlane_b32 s10, v0
	v_readfirstlane_b32 s11, v1
	s_add_nc_u64 s[0:1], s[10:11], 1
	s_delay_alu instid0(SALU_CYCLE_1) | instskip(NEXT) | instid1(SALU_CYCLE_1)
	s_add_nc_u64 s[4:5], s[0:1], s[4:5]
	s_cmp_eq_u64 s[4:5], 0
	s_cselect_b32 s1, s1, s5
	s_cselect_b32 s0, s0, s4
	v_mov_b32_e32 v15, s1
	s_and_b64 s[4:5], s[0:1], s[10:11]
	v_mov_b32_e32 v14, s0
	s_mul_u64 s[4:5], s[4:5], 24
	s_wait_loadcnt 0x0
	v_add_nc_u64_e32 v[0:1], s[4:5], v[8:9]
	global_store_b64 v[0:1], v[16:17], off
	global_wb scope:SCOPE_SYS
	s_wait_storecnt 0x0
	s_wait_xcnt 0x0
	global_atomic_cmpswap_b64 v[10:11], v5, v[14:17], s[2:3] offset:24 th:TH_ATOMIC_RETURN scope:SCOPE_SYS
	s_wait_loadcnt 0x0
	v_cmp_ne_u64_e32 vcc_lo, v[10:11], v[16:17]
	s_and_b32 exec_lo, exec_lo, vcc_lo
	s_cbranch_execz .LBB2_26
; %bb.24:
	s_mov_b32 s4, 0
.LBB2_25:                               ; =>This Inner Loop Header: Depth=1
	v_dual_mov_b32 v8, s0 :: v_dual_mov_b32 v9, s1
	s_sleep 1
	global_store_b64 v[0:1], v[10:11], off
	global_wb scope:SCOPE_SYS
	s_wait_storecnt 0x0
	s_wait_xcnt 0x0
	global_atomic_cmpswap_b64 v[8:9], v5, v[8:11], s[2:3] offset:24 th:TH_ATOMIC_RETURN scope:SCOPE_SYS
	s_wait_loadcnt 0x0
	v_cmp_eq_u64_e32 vcc_lo, v[8:9], v[10:11]
	v_mov_b64_e32 v[10:11], v[8:9]
	s_or_b32 s4, vcc_lo, s4
	s_delay_alu instid0(SALU_CYCLE_1)
	s_and_not1_b32 exec_lo, exec_lo, s4
	s_cbranch_execnz .LBB2_25
.LBB2_26:
	s_or_b32 exec_lo, exec_lo, s6
	s_mov_b32 s1, s33
	s_mov_b32 s0, 0
.LBB2_27:                               ; =>This Inner Loop Header: Depth=1
	scratch_load_u8 v0, off, s1
	s_wait_xcnt 0x0
	s_add_co_i32 s1, s1, 1
	s_wait_loadcnt 0x0
	v_cmp_eq_u16_e32 vcc_lo, 0, v0
	v_mov_b32_e32 v0, s1
	s_or_b32 s0, vcc_lo, s0
	s_delay_alu instid0(SALU_CYCLE_1)
	s_and_not1_b32 exec_lo, exec_lo, s0
	s_cbranch_execnz .LBB2_27
; %bb.28:
	s_or_b32 exec_lo, exec_lo, s0
	s_cmp_lg_u32 s33, -1
	s_cbranch_scc0 .LBB2_113
; %bb.29:
	s_mov_b64 s[0:1], src_flat_scratch_base_lo
	v_mov_b64_e32 v[16:17], 0x100000002
	v_dual_add_nc_u32 v1, s0, v0 :: v_dual_mov_b32 v35, 0
	s_add_co_i32 s0, s33, s0
	v_dual_mov_b32 v9, v13 :: v_dual_bitop2_b32 v0, 2, v12 bitop3:0x40
	s_delay_alu instid0(VALU_DEP_2) | instskip(SKIP_3) | instid1(VALU_DEP_2)
	v_subrev_nc_u32_e32 v38, s0, v1
	v_dual_mov_b32 v1, s33 :: v_dual_bitop2_b32 v8, -3, v12 bitop3:0x40
	s_mov_b32 s7, 0
	s_mov_b32 s6, 0
	v_ashrrev_i32_e32 v39, 31, v38
	s_branch .LBB2_31
.LBB2_30:                               ;   in Loop: Header=BB2_31 Depth=1
	s_or_b32 exec_lo, exec_lo, s10
	v_sub_nc_u64_e32 v[38:39], v[38:39], v[48:49]
	v_add_nc_u32_e32 v1, v1, v48
	s_delay_alu instid0(VALU_DEP_2) | instskip(SKIP_1) | instid1(SALU_CYCLE_1)
	v_cmp_eq_u64_e32 vcc_lo, 0, v[38:39]
	s_or_b32 s6, vcc_lo, s6
	s_and_not1_b32 exec_lo, exec_lo, s6
	s_cbranch_execz .LBB2_114
.LBB2_31:                               ; =>This Loop Header: Depth=1
                                        ;     Child Loop BB2_34 Depth 2
                                        ;     Child Loop BB2_42 Depth 2
	;; [unrolled: 1-line block ×11, first 2 shown]
	s_delay_alu instid0(VALU_DEP_1)
	v_min_u64 v[48:49], v[38:39], 56
	v_add_nc_u32_e32 v14, 8, v1
	s_mov_b32 s0, exec_lo
	v_cmpx_gt_u64_e32 8, v[38:39]
	s_xor_b32 s4, exec_lo, s0
	s_cbranch_execz .LBB2_37
; %bb.32:                               ;   in Loop: Header=BB2_31 Depth=1
	v_mov_b64_e32 v[10:11], 0
	s_mov_b32 s5, exec_lo
	v_cmpx_ne_u64_e32 0, v[38:39]
	s_cbranch_execz .LBB2_36
; %bb.33:                               ;   in Loop: Header=BB2_31 Depth=1
	v_mov_b64_e32 v[10:11], 0
	v_dual_mov_b32 v5, v1 :: v_dual_lshlrev_b32 v14, 3, v48
	s_mov_b64 s[0:1], 0
	s_mov_b32 s10, 0
.LBB2_34:                               ;   Parent Loop BB2_31 Depth=1
                                        ; =>  This Inner Loop Header: Depth=2
	scratch_load_u8 v15, v5, off
	s_wait_xcnt 0x0
	v_dual_mov_b32 v19, s7 :: v_dual_add_nc_u32 v5, 1, v5
	s_wait_loadcnt 0x0
	v_and_b32_e32 v18, 0xffff, v15
	s_delay_alu instid0(VALU_DEP_1) | instskip(SKIP_1) | instid1(SALU_CYCLE_1)
	v_lshlrev_b64_e32 v[18:19], s0, v[18:19]
	s_add_nc_u64 s[0:1], s[0:1], 8
	v_cmp_eq_u32_e32 vcc_lo, s0, v14
	s_delay_alu instid0(VALU_DEP_2) | instskip(NEXT) | instid1(VALU_DEP_3)
	v_or_b32_e32 v11, v19, v11
	v_or_b32_e32 v10, v18, v10
	s_or_b32 s10, vcc_lo, s10
	s_delay_alu instid0(SALU_CYCLE_1)
	s_and_not1_b32 exec_lo, exec_lo, s10
	s_cbranch_execnz .LBB2_34
; %bb.35:                               ;   in Loop: Header=BB2_31 Depth=1
	s_or_b32 exec_lo, exec_lo, s10
.LBB2_36:                               ;   in Loop: Header=BB2_31 Depth=1
	s_delay_alu instid0(SALU_CYCLE_1)
	s_or_b32 exec_lo, exec_lo, s5
	v_mov_b32_e32 v14, v1
.LBB2_37:                               ;   in Loop: Header=BB2_31 Depth=1
	s_or_saveexec_b32 s0, s4
	v_mov_b32_e32 v15, 0
	s_xor_b32 exec_lo, exec_lo, s0
	s_cbranch_execz .LBB2_39
; %bb.38:                               ;   in Loop: Header=BB2_31 Depth=1
	scratch_load_b64 v[10:11], v1, off
	v_add_nc_u32_e32 v15, -8, v48
.LBB2_39:                               ;   in Loop: Header=BB2_31 Depth=1
	s_wait_xcnt 0x0
	s_or_b32 exec_lo, exec_lo, s0
	v_add_nc_u32_e32 v5, 8, v14
                                        ; implicit-def: $vgpr18_vgpr19
	s_mov_b32 s0, exec_lo
	v_cmpx_gt_u32_e32 8, v15
	s_xor_b32 s4, exec_lo, s0
	s_cbranch_execz .LBB2_45
; %bb.40:                               ;   in Loop: Header=BB2_31 Depth=1
	v_mov_b64_e32 v[18:19], 0
	s_mov_b32 s5, exec_lo
	v_cmpx_ne_u32_e32 0, v15
	s_cbranch_execz .LBB2_44
; %bb.41:                               ;   in Loop: Header=BB2_31 Depth=1
	v_mov_b64_e32 v[18:19], 0
	s_mov_b64 s[0:1], 0
	s_mov_b32 s10, 0
	s_mov_b32 s11, 0
.LBB2_42:                               ;   Parent Loop BB2_31 Depth=1
                                        ; =>  This Inner Loop Header: Depth=2
	scratch_load_u8 v5, v14, s11
	v_mov_b32_e32 v21, s7
	s_wait_xcnt 0x0
	s_add_co_i32 s11, s11, 1
	s_delay_alu instid0(SALU_CYCLE_1) | instskip(SKIP_3) | instid1(VALU_DEP_1)
	v_cmp_eq_u32_e32 vcc_lo, s11, v15
	s_or_b32 s10, vcc_lo, s10
	s_wait_loadcnt 0x0
	v_and_b32_e32 v20, 0xffff, v5
	v_lshlrev_b64_e32 v[20:21], s0, v[20:21]
	s_add_nc_u64 s[0:1], s[0:1], 8
	s_delay_alu instid0(VALU_DEP_1) | instskip(NEXT) | instid1(VALU_DEP_2)
	v_or_b32_e32 v19, v21, v19
	v_or_b32_e32 v18, v20, v18
	s_and_not1_b32 exec_lo, exec_lo, s10
	s_cbranch_execnz .LBB2_42
; %bb.43:                               ;   in Loop: Header=BB2_31 Depth=1
	s_or_b32 exec_lo, exec_lo, s10
.LBB2_44:                               ;   in Loop: Header=BB2_31 Depth=1
	s_delay_alu instid0(SALU_CYCLE_1)
	s_or_b32 exec_lo, exec_lo, s5
	v_mov_b32_e32 v5, v14
                                        ; implicit-def: $vgpr15
.LBB2_45:                               ;   in Loop: Header=BB2_31 Depth=1
	s_or_saveexec_b32 s0, s4
	v_mov_b32_e32 v22, 0
	s_xor_b32 exec_lo, exec_lo, s0
	s_cbranch_execz .LBB2_47
; %bb.46:                               ;   in Loop: Header=BB2_31 Depth=1
	scratch_load_b64 v[18:19], v14, off
	v_add_nc_u32_e32 v22, -8, v15
.LBB2_47:                               ;   in Loop: Header=BB2_31 Depth=1
	s_wait_xcnt 0x0
	s_or_b32 exec_lo, exec_lo, s0
	v_add_nc_u32_e32 v14, 8, v5
	s_mov_b32 s0, exec_lo
	v_cmpx_gt_u32_e32 8, v22
	s_xor_b32 s4, exec_lo, s0
	s_cbranch_execz .LBB2_53
; %bb.48:                               ;   in Loop: Header=BB2_31 Depth=1
	v_mov_b64_e32 v[20:21], 0
	s_mov_b32 s5, exec_lo
	v_cmpx_ne_u32_e32 0, v22
	s_cbranch_execz .LBB2_52
; %bb.49:                               ;   in Loop: Header=BB2_31 Depth=1
	v_mov_b64_e32 v[20:21], 0
	s_mov_b64 s[0:1], 0
	s_mov_b32 s10, 0
	s_mov_b32 s11, 0
.LBB2_50:                               ;   Parent Loop BB2_31 Depth=1
                                        ; =>  This Inner Loop Header: Depth=2
	scratch_load_u8 v14, v5, s11
	v_mov_b32_e32 v15, s7
	s_wait_xcnt 0x0
	s_add_co_i32 s11, s11, 1
	s_delay_alu instid0(SALU_CYCLE_1) | instskip(SKIP_3) | instid1(VALU_DEP_1)
	v_cmp_eq_u32_e32 vcc_lo, s11, v22
	s_or_b32 s10, vcc_lo, s10
	s_wait_loadcnt 0x0
	v_and_b32_e32 v14, 0xffff, v14
	v_lshlrev_b64_e32 v[14:15], s0, v[14:15]
	s_add_nc_u64 s[0:1], s[0:1], 8
	s_delay_alu instid0(VALU_DEP_1) | instskip(NEXT) | instid1(VALU_DEP_2)
	v_or_b32_e32 v21, v15, v21
	v_or_b32_e32 v20, v14, v20
	s_and_not1_b32 exec_lo, exec_lo, s10
	s_cbranch_execnz .LBB2_50
; %bb.51:                               ;   in Loop: Header=BB2_31 Depth=1
	s_or_b32 exec_lo, exec_lo, s10
.LBB2_52:                               ;   in Loop: Header=BB2_31 Depth=1
	s_delay_alu instid0(SALU_CYCLE_1)
	s_or_b32 exec_lo, exec_lo, s5
	v_mov_b32_e32 v14, v5
                                        ; implicit-def: $vgpr22
.LBB2_53:                               ;   in Loop: Header=BB2_31 Depth=1
	s_or_saveexec_b32 s0, s4
	v_mov_b32_e32 v15, 0
	s_xor_b32 exec_lo, exec_lo, s0
	s_cbranch_execz .LBB2_55
; %bb.54:                               ;   in Loop: Header=BB2_31 Depth=1
	scratch_load_b64 v[20:21], v5, off
	v_add_nc_u32_e32 v15, -8, v22
.LBB2_55:                               ;   in Loop: Header=BB2_31 Depth=1
	s_wait_xcnt 0x0
	s_or_b32 exec_lo, exec_lo, s0
	v_add_nc_u32_e32 v5, 8, v14
                                        ; implicit-def: $vgpr22_vgpr23
	s_mov_b32 s0, exec_lo
	v_cmpx_gt_u32_e32 8, v15
	s_xor_b32 s4, exec_lo, s0
	s_cbranch_execz .LBB2_61
; %bb.56:                               ;   in Loop: Header=BB2_31 Depth=1
	v_mov_b64_e32 v[22:23], 0
	s_mov_b32 s5, exec_lo
	v_cmpx_ne_u32_e32 0, v15
	s_cbranch_execz .LBB2_60
; %bb.57:                               ;   in Loop: Header=BB2_31 Depth=1
	v_mov_b64_e32 v[22:23], 0
	s_mov_b64 s[0:1], 0
	s_mov_b32 s10, 0
	s_mov_b32 s11, 0
.LBB2_58:                               ;   Parent Loop BB2_31 Depth=1
                                        ; =>  This Inner Loop Header: Depth=2
	scratch_load_u8 v5, v14, s11
	v_mov_b32_e32 v25, s7
	s_wait_xcnt 0x0
	s_add_co_i32 s11, s11, 1
	s_delay_alu instid0(SALU_CYCLE_1) | instskip(SKIP_3) | instid1(VALU_DEP_1)
	v_cmp_eq_u32_e32 vcc_lo, s11, v15
	s_or_b32 s10, vcc_lo, s10
	s_wait_loadcnt 0x0
	v_and_b32_e32 v24, 0xffff, v5
	v_lshlrev_b64_e32 v[24:25], s0, v[24:25]
	s_add_nc_u64 s[0:1], s[0:1], 8
	s_delay_alu instid0(VALU_DEP_1) | instskip(NEXT) | instid1(VALU_DEP_2)
	v_or_b32_e32 v23, v25, v23
	v_or_b32_e32 v22, v24, v22
	s_and_not1_b32 exec_lo, exec_lo, s10
	s_cbranch_execnz .LBB2_58
; %bb.59:                               ;   in Loop: Header=BB2_31 Depth=1
	s_or_b32 exec_lo, exec_lo, s10
.LBB2_60:                               ;   in Loop: Header=BB2_31 Depth=1
	s_delay_alu instid0(SALU_CYCLE_1)
	s_or_b32 exec_lo, exec_lo, s5
	v_mov_b32_e32 v5, v14
                                        ; implicit-def: $vgpr15
.LBB2_61:                               ;   in Loop: Header=BB2_31 Depth=1
	s_or_saveexec_b32 s0, s4
	v_mov_b32_e32 v26, 0
	s_xor_b32 exec_lo, exec_lo, s0
	s_cbranch_execz .LBB2_63
; %bb.62:                               ;   in Loop: Header=BB2_31 Depth=1
	scratch_load_b64 v[22:23], v14, off
	v_add_nc_u32_e32 v26, -8, v15
.LBB2_63:                               ;   in Loop: Header=BB2_31 Depth=1
	s_wait_xcnt 0x0
	s_or_b32 exec_lo, exec_lo, s0
	v_add_nc_u32_e32 v14, 8, v5
	s_mov_b32 s0, exec_lo
	v_cmpx_gt_u32_e32 8, v26
	s_xor_b32 s4, exec_lo, s0
	s_cbranch_execz .LBB2_69
; %bb.64:                               ;   in Loop: Header=BB2_31 Depth=1
	v_mov_b64_e32 v[24:25], 0
	s_mov_b32 s5, exec_lo
	v_cmpx_ne_u32_e32 0, v26
	s_cbranch_execz .LBB2_68
; %bb.65:                               ;   in Loop: Header=BB2_31 Depth=1
	v_mov_b64_e32 v[24:25], 0
	s_mov_b64 s[0:1], 0
	s_mov_b32 s10, 0
	s_mov_b32 s11, 0
.LBB2_66:                               ;   Parent Loop BB2_31 Depth=1
                                        ; =>  This Inner Loop Header: Depth=2
	scratch_load_u8 v14, v5, s11
	v_mov_b32_e32 v15, s7
	s_wait_xcnt 0x0
	s_add_co_i32 s11, s11, 1
	s_delay_alu instid0(SALU_CYCLE_1) | instskip(SKIP_3) | instid1(VALU_DEP_1)
	v_cmp_eq_u32_e32 vcc_lo, s11, v26
	s_or_b32 s10, vcc_lo, s10
	s_wait_loadcnt 0x0
	v_and_b32_e32 v14, 0xffff, v14
	v_lshlrev_b64_e32 v[14:15], s0, v[14:15]
	s_add_nc_u64 s[0:1], s[0:1], 8
	s_delay_alu instid0(VALU_DEP_1) | instskip(NEXT) | instid1(VALU_DEP_2)
	v_or_b32_e32 v25, v15, v25
	v_or_b32_e32 v24, v14, v24
	s_and_not1_b32 exec_lo, exec_lo, s10
	s_cbranch_execnz .LBB2_66
; %bb.67:                               ;   in Loop: Header=BB2_31 Depth=1
	s_or_b32 exec_lo, exec_lo, s10
.LBB2_68:                               ;   in Loop: Header=BB2_31 Depth=1
	s_delay_alu instid0(SALU_CYCLE_1)
	s_or_b32 exec_lo, exec_lo, s5
	v_mov_b32_e32 v14, v5
                                        ; implicit-def: $vgpr26
.LBB2_69:                               ;   in Loop: Header=BB2_31 Depth=1
	s_or_saveexec_b32 s0, s4
	v_mov_b32_e32 v15, 0
	s_xor_b32 exec_lo, exec_lo, s0
	s_cbranch_execz .LBB2_71
; %bb.70:                               ;   in Loop: Header=BB2_31 Depth=1
	scratch_load_b64 v[24:25], v5, off
	v_add_nc_u32_e32 v15, -8, v26
.LBB2_71:                               ;   in Loop: Header=BB2_31 Depth=1
	s_wait_xcnt 0x0
	s_or_b32 exec_lo, exec_lo, s0
	v_add_nc_u32_e32 v5, 8, v14
                                        ; implicit-def: $vgpr26_vgpr27
	s_mov_b32 s0, exec_lo
	v_cmpx_gt_u32_e32 8, v15
	s_xor_b32 s4, exec_lo, s0
	s_cbranch_execz .LBB2_77
; %bb.72:                               ;   in Loop: Header=BB2_31 Depth=1
	v_mov_b64_e32 v[26:27], 0
	s_mov_b32 s5, exec_lo
	v_cmpx_ne_u32_e32 0, v15
	s_cbranch_execz .LBB2_76
; %bb.73:                               ;   in Loop: Header=BB2_31 Depth=1
	v_mov_b64_e32 v[26:27], 0
	s_mov_b64 s[0:1], 0
	s_mov_b32 s10, 0
	s_mov_b32 s11, 0
.LBB2_74:                               ;   Parent Loop BB2_31 Depth=1
                                        ; =>  This Inner Loop Header: Depth=2
	scratch_load_u8 v5, v14, s11
	v_mov_b32_e32 v29, s7
	s_wait_xcnt 0x0
	s_add_co_i32 s11, s11, 1
	s_delay_alu instid0(SALU_CYCLE_1) | instskip(SKIP_3) | instid1(VALU_DEP_1)
	v_cmp_eq_u32_e32 vcc_lo, s11, v15
	s_or_b32 s10, vcc_lo, s10
	s_wait_loadcnt 0x0
	v_and_b32_e32 v28, 0xffff, v5
	v_lshlrev_b64_e32 v[28:29], s0, v[28:29]
	s_add_nc_u64 s[0:1], s[0:1], 8
	s_delay_alu instid0(VALU_DEP_1) | instskip(NEXT) | instid1(VALU_DEP_2)
	v_or_b32_e32 v27, v29, v27
	v_or_b32_e32 v26, v28, v26
	s_and_not1_b32 exec_lo, exec_lo, s10
	s_cbranch_execnz .LBB2_74
; %bb.75:                               ;   in Loop: Header=BB2_31 Depth=1
	s_or_b32 exec_lo, exec_lo, s10
.LBB2_76:                               ;   in Loop: Header=BB2_31 Depth=1
	s_delay_alu instid0(SALU_CYCLE_1)
	s_or_b32 exec_lo, exec_lo, s5
	v_mov_b32_e32 v5, v14
                                        ; implicit-def: $vgpr15
.LBB2_77:                               ;   in Loop: Header=BB2_31 Depth=1
	s_or_saveexec_b32 s0, s4
	v_mov_b32_e32 v30, 0
	s_xor_b32 exec_lo, exec_lo, s0
	s_cbranch_execz .LBB2_79
; %bb.78:                               ;   in Loop: Header=BB2_31 Depth=1
	scratch_load_b64 v[26:27], v14, off
	v_add_nc_u32_e32 v30, -8, v15
.LBB2_79:                               ;   in Loop: Header=BB2_31 Depth=1
	s_wait_xcnt 0x0
	s_or_b32 exec_lo, exec_lo, s0
	s_delay_alu instid0(SALU_CYCLE_1) | instskip(NEXT) | instid1(VALU_DEP_1)
	s_mov_b32 s0, exec_lo
	v_cmpx_gt_u32_e32 8, v30
	s_xor_b32 s4, exec_lo, s0
	s_cbranch_execz .LBB2_85
; %bb.80:                               ;   in Loop: Header=BB2_31 Depth=1
	v_mov_b64_e32 v[28:29], 0
	s_mov_b32 s5, exec_lo
	v_cmpx_ne_u32_e32 0, v30
	s_cbranch_execz .LBB2_84
; %bb.81:                               ;   in Loop: Header=BB2_31 Depth=1
	v_mov_b64_e32 v[28:29], 0
	s_mov_b64 s[0:1], 0
	s_mov_b32 s10, 0
.LBB2_82:                               ;   Parent Loop BB2_31 Depth=1
                                        ; =>  This Inner Loop Header: Depth=2
	scratch_load_u8 v14, v5, off
	v_dual_mov_b32 v15, s7 :: v_dual_add_nc_u32 v30, -1, v30
	s_delay_alu instid0(VALU_DEP_1) | instskip(SKIP_3) | instid1(VALU_DEP_1)
	v_cmp_eq_u32_e32 vcc_lo, 0, v30
	s_or_b32 s10, vcc_lo, s10
	s_wait_loadcnt 0x0
	v_and_b32_e32 v14, 0xffff, v14
	v_lshlrev_b64_e32 v[14:15], s0, v[14:15]
	s_wait_xcnt 0x0
	v_add_nc_u32_e32 v5, 1, v5
	s_add_nc_u64 s[0:1], s[0:1], 8
	s_delay_alu instid0(VALU_DEP_2) | instskip(NEXT) | instid1(VALU_DEP_3)
	v_or_b32_e32 v29, v15, v29
	v_or_b32_e32 v28, v14, v28
	s_and_not1_b32 exec_lo, exec_lo, s10
	s_cbranch_execnz .LBB2_82
; %bb.83:                               ;   in Loop: Header=BB2_31 Depth=1
	s_or_b32 exec_lo, exec_lo, s10
.LBB2_84:                               ;   in Loop: Header=BB2_31 Depth=1
	s_delay_alu instid0(SALU_CYCLE_1)
	s_or_b32 exec_lo, exec_lo, s5
                                        ; implicit-def: $vgpr5
.LBB2_85:                               ;   in Loop: Header=BB2_31 Depth=1
	s_and_not1_saveexec_b32 s0, s4
	s_cbranch_execz .LBB2_87
; %bb.86:                               ;   in Loop: Header=BB2_31 Depth=1
	scratch_load_b64 v[28:29], v5, off
.LBB2_87:                               ;   in Loop: Header=BB2_31 Depth=1
	s_wait_xcnt 0x0
	s_or_b32 exec_lo, exec_lo, s0
	v_readfirstlane_b32 s0, v54
	v_mov_b64_e32 v[14:15], 0
	s_delay_alu instid0(VALU_DEP_2)
	v_cmp_eq_u32_e64 s0, s0, v54
	s_and_saveexec_b32 s1, s0
	s_cbranch_execz .LBB2_93
; %bb.88:                               ;   in Loop: Header=BB2_31 Depth=1
	global_load_b64 v[32:33], v35, s[2:3] offset:24 scope:SCOPE_SYS
	s_wait_loadcnt 0x0
	global_inv scope:SCOPE_SYS
	s_clause 0x1
	global_load_b64 v[14:15], v35, s[2:3] offset:40
	global_load_b64 v[30:31], v35, s[2:3]
	s_mov_b32 s4, exec_lo
	s_wait_loadcnt 0x1
	v_and_b32_e32 v14, v14, v32
	v_and_b32_e32 v15, v15, v33
	s_delay_alu instid0(VALU_DEP_1) | instskip(SKIP_1) | instid1(VALU_DEP_1)
	v_mul_u64_e32 v[14:15], 24, v[14:15]
	s_wait_loadcnt 0x0
	v_add_nc_u64_e32 v[14:15], v[30:31], v[14:15]
	global_load_b64 v[30:31], v[14:15], off scope:SCOPE_SYS
	s_wait_xcnt 0x0
	s_wait_loadcnt 0x0
	global_atomic_cmpswap_b64 v[14:15], v35, v[30:33], s[2:3] offset:24 th:TH_ATOMIC_RETURN scope:SCOPE_SYS
	s_wait_loadcnt 0x0
	global_inv scope:SCOPE_SYS
	s_wait_xcnt 0x0
	v_cmpx_ne_u64_e64 v[14:15], v[32:33]
	s_cbranch_execz .LBB2_92
; %bb.89:                               ;   in Loop: Header=BB2_31 Depth=1
	s_mov_b32 s5, 0
.LBB2_90:                               ;   Parent Loop BB2_31 Depth=1
                                        ; =>  This Inner Loop Header: Depth=2
	s_sleep 1
	s_clause 0x1
	global_load_b64 v[30:31], v35, s[2:3] offset:40
	global_load_b64 v[50:51], v35, s[2:3]
	v_mov_b64_e32 v[32:33], v[14:15]
	s_wait_loadcnt 0x1
	s_delay_alu instid0(VALU_DEP_1) | instskip(SKIP_1) | instid1(VALU_DEP_1)
	v_and_b32_e32 v5, v30, v32
	s_wait_loadcnt 0x0
	v_mad_nc_u64_u32 v[14:15], v5, 24, v[50:51]
	s_delay_alu instid0(VALU_DEP_3) | instskip(NEXT) | instid1(VALU_DEP_1)
	v_and_b32_e32 v5, v31, v33
	v_mad_u32 v15, v5, 24, v15
	global_load_b64 v[30:31], v[14:15], off scope:SCOPE_SYS
	s_wait_xcnt 0x0
	s_wait_loadcnt 0x0
	global_atomic_cmpswap_b64 v[14:15], v35, v[30:33], s[2:3] offset:24 th:TH_ATOMIC_RETURN scope:SCOPE_SYS
	s_wait_loadcnt 0x0
	global_inv scope:SCOPE_SYS
	v_cmp_eq_u64_e32 vcc_lo, v[14:15], v[32:33]
	s_or_b32 s5, vcc_lo, s5
	s_wait_xcnt 0x0
	s_and_not1_b32 exec_lo, exec_lo, s5
	s_cbranch_execnz .LBB2_90
; %bb.91:                               ;   in Loop: Header=BB2_31 Depth=1
	s_or_b32 exec_lo, exec_lo, s5
.LBB2_92:                               ;   in Loop: Header=BB2_31 Depth=1
	s_delay_alu instid0(SALU_CYCLE_1)
	s_or_b32 exec_lo, exec_lo, s4
.LBB2_93:                               ;   in Loop: Header=BB2_31 Depth=1
	s_delay_alu instid0(SALU_CYCLE_1)
	s_or_b32 exec_lo, exec_lo, s1
	s_clause 0x1
	global_load_b64 v[50:51], v35, s[2:3] offset:40
	global_load_b128 v[30:33], v35, s[2:3]
	v_readfirstlane_b32 s4, v14
	v_readfirstlane_b32 s5, v15
	s_mov_b32 s1, exec_lo
	s_wait_loadcnt 0x1
	v_and_b32_e32 v52, s4, v50
	v_and_b32_e32 v53, s5, v51
	s_delay_alu instid0(VALU_DEP_1) | instskip(SKIP_1) | instid1(VALU_DEP_1)
	v_mul_u64_e32 v[14:15], 24, v[52:53]
	s_wait_loadcnt 0x0
	v_add_nc_u64_e32 v[50:51], v[30:31], v[14:15]
	s_wait_xcnt 0x0
	s_and_saveexec_b32 s10, s0
	s_cbranch_execz .LBB2_95
; %bb.94:                               ;   in Loop: Header=BB2_31 Depth=1
	v_dual_mov_b32 v14, s1 :: v_dual_mov_b32 v15, v35
	global_store_b128 v[50:51], v[14:17], off offset:8
.LBB2_95:                               ;   in Loop: Header=BB2_31 Depth=1
	s_wait_xcnt 0x0
	s_or_b32 exec_lo, exec_lo, s10
	v_cmp_gt_u64_e32 vcc_lo, 57, v[38:39]
	v_lshlrev_b64_e32 v[14:15], 12, v[52:53]
	v_and_b32_e32 v8, 0xffffff1f, v8
	v_lshl_add_u32 v52, v48, 2, 28
	v_cndmask_b32_e32 v5, 0, v0, vcc_lo
	s_delay_alu instid0(VALU_DEP_4) | instskip(NEXT) | instid1(VALU_DEP_2)
	v_add_nc_u64_e32 v[14:15], v[32:33], v[14:15]
	v_or_b32_e32 v5, v8, v5
	s_delay_alu instid0(VALU_DEP_2) | instskip(NEXT) | instid1(VALU_DEP_3)
	v_readfirstlane_b32 s10, v14
	v_readfirstlane_b32 s11, v15
	s_delay_alu instid0(VALU_DEP_3)
	v_and_or_b32 v8, 0x1e0, v52, v5
	s_clause 0x3
	global_store_b128 v34, v[8:11], s[10:11]
	global_store_b128 v34, v[18:21], s[10:11] offset:16
	global_store_b128 v34, v[22:25], s[10:11] offset:32
	;; [unrolled: 1-line block ×3, first 2 shown]
	s_wait_xcnt 0x0
	s_and_saveexec_b32 s1, s0
	s_cbranch_execz .LBB2_103
; %bb.96:                               ;   in Loop: Header=BB2_31 Depth=1
	s_clause 0x1
	global_load_b64 v[22:23], v35, s[2:3] offset:32 scope:SCOPE_SYS
	global_load_b64 v[8:9], v35, s[2:3] offset:40
	s_mov_b32 s10, exec_lo
	v_dual_mov_b32 v20, s4 :: v_dual_mov_b32 v21, s5
	s_wait_loadcnt 0x0
	v_and_b32_e32 v9, s5, v9
	v_and_b32_e32 v8, s4, v8
	s_delay_alu instid0(VALU_DEP_1) | instskip(NEXT) | instid1(VALU_DEP_1)
	v_mul_u64_e32 v[8:9], 24, v[8:9]
	v_add_nc_u64_e32 v[18:19], v[30:31], v[8:9]
	global_store_b64 v[18:19], v[22:23], off
	global_wb scope:SCOPE_SYS
	s_wait_storecnt 0x0
	s_wait_xcnt 0x0
	global_atomic_cmpswap_b64 v[10:11], v35, v[20:23], s[2:3] offset:32 th:TH_ATOMIC_RETURN scope:SCOPE_SYS
	s_wait_loadcnt 0x0
	v_cmpx_ne_u64_e64 v[10:11], v[22:23]
	s_cbranch_execz .LBB2_99
; %bb.97:                               ;   in Loop: Header=BB2_31 Depth=1
	s_mov_b32 s11, 0
.LBB2_98:                               ;   Parent Loop BB2_31 Depth=1
                                        ; =>  This Inner Loop Header: Depth=2
	v_dual_mov_b32 v8, s4 :: v_dual_mov_b32 v9, s5
	s_sleep 1
	global_store_b64 v[18:19], v[10:11], off
	global_wb scope:SCOPE_SYS
	s_wait_storecnt 0x0
	s_wait_xcnt 0x0
	global_atomic_cmpswap_b64 v[8:9], v35, v[8:11], s[2:3] offset:32 th:TH_ATOMIC_RETURN scope:SCOPE_SYS
	s_wait_loadcnt 0x0
	v_cmp_eq_u64_e32 vcc_lo, v[8:9], v[10:11]
	v_mov_b64_e32 v[10:11], v[8:9]
	s_or_b32 s11, vcc_lo, s11
	s_delay_alu instid0(SALU_CYCLE_1)
	s_and_not1_b32 exec_lo, exec_lo, s11
	s_cbranch_execnz .LBB2_98
.LBB2_99:                               ;   in Loop: Header=BB2_31 Depth=1
	s_or_b32 exec_lo, exec_lo, s10
	global_load_b64 v[8:9], v35, s[2:3] offset:16
	s_mov_b32 s11, exec_lo
	s_mov_b32 s10, exec_lo
	v_mbcnt_lo_u32_b32 v5, s11, 0
	s_wait_xcnt 0x0
	s_delay_alu instid0(VALU_DEP_1)
	v_cmpx_eq_u32_e32 0, v5
	s_cbranch_execz .LBB2_101
; %bb.100:                              ;   in Loop: Header=BB2_31 Depth=1
	s_bcnt1_i32_b32 s11, s11
	s_delay_alu instid0(SALU_CYCLE_1)
	v_dual_mov_b32 v11, v35 :: v_dual_mov_b32 v10, s11
	global_wb scope:SCOPE_SYS
	s_wait_loadcnt 0x0
	s_wait_storecnt 0x0
	global_atomic_add_u64 v[8:9], v[10:11], off offset:8 scope:SCOPE_SYS
.LBB2_101:                              ;   in Loop: Header=BB2_31 Depth=1
	s_wait_xcnt 0x0
	s_or_b32 exec_lo, exec_lo, s10
	s_wait_loadcnt 0x0
	global_load_b64 v[10:11], v[8:9], off offset:16
	s_wait_loadcnt 0x0
	v_cmp_eq_u64_e32 vcc_lo, 0, v[10:11]
	s_cbranch_vccnz .LBB2_103
; %bb.102:                              ;   in Loop: Header=BB2_31 Depth=1
	global_load_b32 v8, v[8:9], off offset:24
	s_wait_xcnt 0x0
	v_mov_b32_e32 v9, v35
	s_wait_loadcnt 0x0
	v_readfirstlane_b32 s10, v8
	global_wb scope:SCOPE_SYS
	s_wait_storecnt 0x0
	global_store_b64 v[10:11], v[8:9], off scope:SCOPE_SYS
	s_and_b32 m0, s10, 0xffffff
	s_sendmsg sendmsg(MSG_INTERRUPT)
.LBB2_103:                              ;   in Loop: Header=BB2_31 Depth=1
	s_wait_xcnt 0x0
	s_or_b32 exec_lo, exec_lo, s1
	v_add_nc_u64_e32 v[8:9], v[14:15], v[34:35]
	s_branch .LBB2_107
.LBB2_104:                              ;   in Loop: Header=BB2_107 Depth=2
	s_wait_xcnt 0x0
	s_or_b32 exec_lo, exec_lo, s1
	s_delay_alu instid0(VALU_DEP_1)
	v_readfirstlane_b32 s1, v5
	s_cmp_eq_u32 s1, 0
	s_cbranch_scc1 .LBB2_106
; %bb.105:                              ;   in Loop: Header=BB2_107 Depth=2
	s_sleep 1
	s_cbranch_execnz .LBB2_107
	s_branch .LBB2_109
.LBB2_106:                              ;   in Loop: Header=BB2_31 Depth=1
	s_branch .LBB2_109
.LBB2_107:                              ;   Parent Loop BB2_31 Depth=1
                                        ; =>  This Inner Loop Header: Depth=2
	v_mov_b32_e32 v5, 1
	s_and_saveexec_b32 s1, s0
	s_cbranch_execz .LBB2_104
; %bb.108:                              ;   in Loop: Header=BB2_107 Depth=2
	global_load_b32 v5, v[50:51], off offset:20 scope:SCOPE_SYS
	s_wait_loadcnt 0x0
	global_inv scope:SCOPE_SYS
	v_and_b32_e32 v5, 1, v5
	s_branch .LBB2_104
.LBB2_109:                              ;   in Loop: Header=BB2_31 Depth=1
	global_load_b64 v[8:9], v[8:9], off
	s_wait_xcnt 0x0
	s_and_saveexec_b32 s10, s0
	s_cbranch_execz .LBB2_30
; %bb.110:                              ;   in Loop: Header=BB2_31 Depth=1
	s_clause 0x2
	global_load_b64 v[10:11], v35, s[2:3] offset:40
	global_load_b64 v[22:23], v35, s[2:3] offset:24 scope:SCOPE_SYS
	global_load_b64 v[14:15], v35, s[2:3]
	s_wait_loadcnt 0x2
	v_readfirstlane_b32 s12, v10
	v_readfirstlane_b32 s13, v11
	s_add_nc_u64 s[0:1], s[12:13], 1
	s_delay_alu instid0(SALU_CYCLE_1) | instskip(NEXT) | instid1(SALU_CYCLE_1)
	s_add_nc_u64 s[4:5], s[0:1], s[4:5]
	s_cmp_eq_u64 s[4:5], 0
	s_cselect_b32 s1, s1, s5
	s_cselect_b32 s0, s0, s4
	s_delay_alu instid0(SALU_CYCLE_1) | instskip(SKIP_1) | instid1(SALU_CYCLE_1)
	v_dual_mov_b32 v21, s1 :: v_dual_mov_b32 v20, s0
	s_and_b64 s[4:5], s[0:1], s[12:13]
	s_mul_u64 s[4:5], s[4:5], 24
	s_wait_loadcnt 0x0
	v_add_nc_u64_e32 v[10:11], s[4:5], v[14:15]
	global_store_b64 v[10:11], v[22:23], off
	global_wb scope:SCOPE_SYS
	s_wait_storecnt 0x0
	s_wait_xcnt 0x0
	global_atomic_cmpswap_b64 v[20:21], v35, v[20:23], s[2:3] offset:24 th:TH_ATOMIC_RETURN scope:SCOPE_SYS
	s_wait_loadcnt 0x0
	v_cmp_ne_u64_e32 vcc_lo, v[20:21], v[22:23]
	s_and_b32 exec_lo, exec_lo, vcc_lo
	s_cbranch_execz .LBB2_30
; %bb.111:                              ;   in Loop: Header=BB2_31 Depth=1
	s_mov_b32 s4, 0
.LBB2_112:                              ;   Parent Loop BB2_31 Depth=1
                                        ; =>  This Inner Loop Header: Depth=2
	v_dual_mov_b32 v18, s0 :: v_dual_mov_b32 v19, s1
	s_sleep 1
	global_store_b64 v[10:11], v[20:21], off
	global_wb scope:SCOPE_SYS
	s_wait_storecnt 0x0
	s_wait_xcnt 0x0
	global_atomic_cmpswap_b64 v[14:15], v35, v[18:21], s[2:3] offset:24 th:TH_ATOMIC_RETURN scope:SCOPE_SYS
	s_wait_loadcnt 0x0
	v_cmp_eq_u64_e32 vcc_lo, v[14:15], v[20:21]
	v_mov_b64_e32 v[20:21], v[14:15]
	s_or_b32 s4, vcc_lo, s4
	s_delay_alu instid0(SALU_CYCLE_1)
	s_and_not1_b32 exec_lo, exec_lo, s4
	s_cbranch_execnz .LBB2_112
	s_branch .LBB2_30
.LBB2_113:
                                        ; implicit-def: $vgpr8_vgpr9
	s_cbranch_execnz .LBB2_115
	s_branch .LBB2_142
.LBB2_114:
	s_or_b32 exec_lo, exec_lo, s6
	s_branch .LBB2_142
.LBB2_115:
	v_readfirstlane_b32 s0, v54
	v_mov_b64_e32 v[0:1], 0
	s_delay_alu instid0(VALU_DEP_2)
	v_cmp_eq_u32_e64 s0, s0, v54
	s_and_saveexec_b32 s1, s0
	s_cbranch_execz .LBB2_121
; %bb.116:
	v_mov_b32_e32 v5, 0
	s_mov_b32 s4, exec_lo
	global_load_b64 v[10:11], v5, s[2:3] offset:24 scope:SCOPE_SYS
	s_wait_loadcnt 0x0
	global_inv scope:SCOPE_SYS
	s_clause 0x1
	global_load_b64 v[0:1], v5, s[2:3] offset:40
	global_load_b64 v[8:9], v5, s[2:3]
	s_wait_loadcnt 0x1
	v_and_b32_e32 v0, v0, v10
	v_and_b32_e32 v1, v1, v11
	s_delay_alu instid0(VALU_DEP_1) | instskip(SKIP_1) | instid1(VALU_DEP_1)
	v_mul_u64_e32 v[0:1], 24, v[0:1]
	s_wait_loadcnt 0x0
	v_add_nc_u64_e32 v[0:1], v[8:9], v[0:1]
	global_load_b64 v[8:9], v[0:1], off scope:SCOPE_SYS
	s_wait_xcnt 0x0
	s_wait_loadcnt 0x0
	global_atomic_cmpswap_b64 v[0:1], v5, v[8:11], s[2:3] offset:24 th:TH_ATOMIC_RETURN scope:SCOPE_SYS
	s_wait_loadcnt 0x0
	global_inv scope:SCOPE_SYS
	s_wait_xcnt 0x0
	v_cmpx_ne_u64_e64 v[0:1], v[10:11]
	s_cbranch_execz .LBB2_120
; %bb.117:
	s_mov_b32 s5, 0
.LBB2_118:                              ; =>This Inner Loop Header: Depth=1
	s_sleep 1
	s_clause 0x1
	global_load_b64 v[8:9], v5, s[2:3] offset:40
	global_load_b64 v[14:15], v5, s[2:3]
	v_mov_b64_e32 v[10:11], v[0:1]
	s_wait_loadcnt 0x1
	s_delay_alu instid0(VALU_DEP_1) | instskip(NEXT) | instid1(VALU_DEP_2)
	v_and_b32_e32 v0, v8, v10
	v_and_b32_e32 v8, v9, v11
	s_wait_loadcnt 0x0
	s_delay_alu instid0(VALU_DEP_2) | instskip(NEXT) | instid1(VALU_DEP_1)
	v_mad_nc_u64_u32 v[0:1], v0, 24, v[14:15]
	v_mad_u32 v1, v8, 24, v1
	global_load_b64 v[8:9], v[0:1], off scope:SCOPE_SYS
	s_wait_xcnt 0x0
	s_wait_loadcnt 0x0
	global_atomic_cmpswap_b64 v[0:1], v5, v[8:11], s[2:3] offset:24 th:TH_ATOMIC_RETURN scope:SCOPE_SYS
	s_wait_loadcnt 0x0
	global_inv scope:SCOPE_SYS
	v_cmp_eq_u64_e32 vcc_lo, v[0:1], v[10:11]
	s_or_b32 s5, vcc_lo, s5
	s_wait_xcnt 0x0
	s_and_not1_b32 exec_lo, exec_lo, s5
	s_cbranch_execnz .LBB2_118
; %bb.119:
	s_or_b32 exec_lo, exec_lo, s5
.LBB2_120:
	s_delay_alu instid0(SALU_CYCLE_1)
	s_or_b32 exec_lo, exec_lo, s4
.LBB2_121:
	s_delay_alu instid0(SALU_CYCLE_1)
	s_or_b32 exec_lo, exec_lo, s1
	v_readfirstlane_b32 s4, v0
	v_mov_b32_e32 v35, 0
	v_readfirstlane_b32 s5, v1
	s_mov_b32 s1, exec_lo
	global_load_b64 v[14:15], v35, s[2:3] offset:40
	s_wait_loadcnt 0x1
	global_load_b128 v[8:11], v35, s[2:3]
	s_wait_loadcnt 0x1
	v_and_b32_e32 v14, s4, v14
	v_and_b32_e32 v15, s5, v15
	s_delay_alu instid0(VALU_DEP_1) | instskip(SKIP_1) | instid1(VALU_DEP_1)
	v_mul_u64_e32 v[0:1], 24, v[14:15]
	s_wait_loadcnt 0x0
	v_add_nc_u64_e32 v[0:1], v[8:9], v[0:1]
	s_wait_xcnt 0x0
	s_and_saveexec_b32 s6, s0
	s_cbranch_execz .LBB2_123
; %bb.122:
	v_mov_b64_e32 v[18:19], 0x100000002
	v_dual_mov_b32 v16, s1 :: v_dual_mov_b32 v17, v35
	global_store_b128 v[0:1], v[16:19], off offset:8
.LBB2_123:
	s_wait_xcnt 0x0
	s_or_b32 exec_lo, exec_lo, s6
	v_lshlrev_b64_e32 v[14:15], 12, v[14:15]
	s_mov_b32 s12, 0
	v_and_or_b32 v12, 0xffffff1f, v12, 32
	s_mov_b32 s14, s12
	s_mov_b32 s15, s12
	;; [unrolled: 1-line block ×3, first 2 shown]
	v_mov_b64_e32 v[20:21], s[14:15]
	v_add_nc_u64_e32 v[16:17], v[10:11], v[14:15]
	v_mov_b64_e32 v[18:19], s[12:13]
	v_dual_mov_b32 v14, v35 :: v_dual_mov_b32 v15, v35
	s_delay_alu instid0(VALU_DEP_3) | instskip(NEXT) | instid1(VALU_DEP_4)
	v_readfirstlane_b32 s6, v16
	v_readfirstlane_b32 s7, v17
	s_clause 0x3
	global_store_b128 v34, v[12:15], s[6:7]
	global_store_b128 v34, v[18:21], s[6:7] offset:16
	global_store_b128 v34, v[18:21], s[6:7] offset:32
	;; [unrolled: 1-line block ×3, first 2 shown]
	s_wait_xcnt 0x0
	s_and_saveexec_b32 s1, s0
	s_cbranch_execz .LBB2_131
; %bb.124:
	v_dual_mov_b32 v5, 0 :: v_dual_mov_b32 v19, s5
	s_mov_b32 s6, exec_lo
	s_clause 0x1
	global_load_b64 v[20:21], v5, s[2:3] offset:32 scope:SCOPE_SYS
	global_load_b64 v[10:11], v5, s[2:3] offset:40
	s_wait_loadcnt 0x0
	v_dual_mov_b32 v18, s4 :: v_dual_bitop2_b32 v11, s5, v11 bitop3:0x40
	v_and_b32_e32 v10, s4, v10
	s_delay_alu instid0(VALU_DEP_1) | instskip(NEXT) | instid1(VALU_DEP_1)
	v_mul_u64_e32 v[10:11], 24, v[10:11]
	v_add_nc_u64_e32 v[12:13], v[8:9], v[10:11]
	global_store_b64 v[12:13], v[20:21], off
	global_wb scope:SCOPE_SYS
	s_wait_storecnt 0x0
	s_wait_xcnt 0x0
	global_atomic_cmpswap_b64 v[10:11], v5, v[18:21], s[2:3] offset:32 th:TH_ATOMIC_RETURN scope:SCOPE_SYS
	s_wait_loadcnt 0x0
	v_cmpx_ne_u64_e64 v[10:11], v[20:21]
	s_cbranch_execz .LBB2_127
; %bb.125:
	s_mov_b32 s7, 0
.LBB2_126:                              ; =>This Inner Loop Header: Depth=1
	v_dual_mov_b32 v8, s4 :: v_dual_mov_b32 v9, s5
	s_sleep 1
	global_store_b64 v[12:13], v[10:11], off
	global_wb scope:SCOPE_SYS
	s_wait_storecnt 0x0
	s_wait_xcnt 0x0
	global_atomic_cmpswap_b64 v[8:9], v5, v[8:11], s[2:3] offset:32 th:TH_ATOMIC_RETURN scope:SCOPE_SYS
	s_wait_loadcnt 0x0
	v_cmp_eq_u64_e32 vcc_lo, v[8:9], v[10:11]
	v_mov_b64_e32 v[10:11], v[8:9]
	s_or_b32 s7, vcc_lo, s7
	s_delay_alu instid0(SALU_CYCLE_1)
	s_and_not1_b32 exec_lo, exec_lo, s7
	s_cbranch_execnz .LBB2_126
.LBB2_127:
	s_or_b32 exec_lo, exec_lo, s6
	v_mov_b32_e32 v11, 0
	s_mov_b32 s7, exec_lo
	s_mov_b32 s6, exec_lo
	v_mbcnt_lo_u32_b32 v5, s7, 0
	global_load_b64 v[8:9], v11, s[2:3] offset:16
	s_wait_xcnt 0x0
	v_cmpx_eq_u32_e32 0, v5
	s_cbranch_execz .LBB2_129
; %bb.128:
	s_bcnt1_i32_b32 s7, s7
	s_delay_alu instid0(SALU_CYCLE_1)
	v_mov_b32_e32 v10, s7
	global_wb scope:SCOPE_SYS
	s_wait_loadcnt 0x0
	s_wait_storecnt 0x0
	global_atomic_add_u64 v[8:9], v[10:11], off offset:8 scope:SCOPE_SYS
.LBB2_129:
	s_wait_xcnt 0x0
	s_or_b32 exec_lo, exec_lo, s6
	s_wait_loadcnt 0x0
	global_load_b64 v[10:11], v[8:9], off offset:16
	s_wait_loadcnt 0x0
	v_cmp_eq_u64_e32 vcc_lo, 0, v[10:11]
	s_cbranch_vccnz .LBB2_131
; %bb.130:
	global_load_b32 v8, v[8:9], off offset:24
	s_wait_xcnt 0x0
	v_mov_b32_e32 v9, 0
	s_wait_loadcnt 0x0
	v_readfirstlane_b32 s6, v8
	global_wb scope:SCOPE_SYS
	s_wait_storecnt 0x0
	global_store_b64 v[10:11], v[8:9], off scope:SCOPE_SYS
	s_and_b32 m0, s6, 0xffffff
	s_sendmsg sendmsg(MSG_INTERRUPT)
.LBB2_131:
	s_wait_xcnt 0x0
	s_or_b32 exec_lo, exec_lo, s1
	v_add_nc_u64_e32 v[8:9], v[16:17], v[34:35]
	s_branch .LBB2_135
.LBB2_132:                              ;   in Loop: Header=BB2_135 Depth=1
	s_wait_xcnt 0x0
	s_or_b32 exec_lo, exec_lo, s1
	s_delay_alu instid0(VALU_DEP_1)
	v_readfirstlane_b32 s1, v5
	s_cmp_eq_u32 s1, 0
	s_cbranch_scc1 .LBB2_134
; %bb.133:                              ;   in Loop: Header=BB2_135 Depth=1
	s_sleep 1
	s_cbranch_execnz .LBB2_135
	s_branch .LBB2_137
.LBB2_134:
	s_branch .LBB2_137
.LBB2_135:                              ; =>This Inner Loop Header: Depth=1
	v_mov_b32_e32 v5, 1
	s_and_saveexec_b32 s1, s0
	s_cbranch_execz .LBB2_132
; %bb.136:                              ;   in Loop: Header=BB2_135 Depth=1
	global_load_b32 v5, v[0:1], off offset:20 scope:SCOPE_SYS
	s_wait_loadcnt 0x0
	global_inv scope:SCOPE_SYS
	v_and_b32_e32 v5, 1, v5
	s_branch .LBB2_132
.LBB2_137:
	global_load_b64 v[8:9], v[8:9], off
	s_wait_xcnt 0x0
	s_and_saveexec_b32 s6, s0
	s_cbranch_execz .LBB2_141
; %bb.138:
	v_mov_b32_e32 v5, 0
	s_clause 0x2
	global_load_b64 v[0:1], v5, s[2:3] offset:40
	global_load_b64 v[14:15], v5, s[2:3] offset:24 scope:SCOPE_SYS
	global_load_b64 v[10:11], v5, s[2:3]
	s_wait_loadcnt 0x2
	v_readfirstlane_b32 s10, v0
	v_readfirstlane_b32 s11, v1
	s_add_nc_u64 s[0:1], s[10:11], 1
	s_delay_alu instid0(SALU_CYCLE_1) | instskip(NEXT) | instid1(SALU_CYCLE_1)
	s_add_nc_u64 s[4:5], s[0:1], s[4:5]
	s_cmp_eq_u64 s[4:5], 0
	s_cselect_b32 s1, s1, s5
	s_cselect_b32 s0, s0, s4
	v_mov_b32_e32 v13, s1
	s_and_b64 s[4:5], s[0:1], s[10:11]
	v_mov_b32_e32 v12, s0
	s_mul_u64 s[4:5], s[4:5], 24
	s_wait_loadcnt 0x0
	v_add_nc_u64_e32 v[0:1], s[4:5], v[10:11]
	global_store_b64 v[0:1], v[14:15], off
	global_wb scope:SCOPE_SYS
	s_wait_storecnt 0x0
	s_wait_xcnt 0x0
	global_atomic_cmpswap_b64 v[12:13], v5, v[12:15], s[2:3] offset:24 th:TH_ATOMIC_RETURN scope:SCOPE_SYS
	s_wait_loadcnt 0x0
	v_cmp_ne_u64_e32 vcc_lo, v[12:13], v[14:15]
	s_and_b32 exec_lo, exec_lo, vcc_lo
	s_cbranch_execz .LBB2_141
; %bb.139:
	s_mov_b32 s4, 0
.LBB2_140:                              ; =>This Inner Loop Header: Depth=1
	v_dual_mov_b32 v10, s0 :: v_dual_mov_b32 v11, s1
	s_sleep 1
	global_store_b64 v[0:1], v[12:13], off
	global_wb scope:SCOPE_SYS
	s_wait_storecnt 0x0
	s_wait_xcnt 0x0
	global_atomic_cmpswap_b64 v[10:11], v5, v[10:13], s[2:3] offset:24 th:TH_ATOMIC_RETURN scope:SCOPE_SYS
	s_wait_loadcnt 0x0
	v_cmp_eq_u64_e32 vcc_lo, v[10:11], v[12:13]
	v_mov_b64_e32 v[12:13], v[10:11]
	s_or_b32 s4, vcc_lo, s4
	s_delay_alu instid0(SALU_CYCLE_1)
	s_and_not1_b32 exec_lo, exec_lo, s4
	s_cbranch_execnz .LBB2_140
.LBB2_141:
	s_or_b32 exec_lo, exec_lo, s6
.LBB2_142:
	v_mov_b64_e32 v[0:1], v[2:3]
	s_mov_b32 s0, 0
.LBB2_143:                              ; =>This Inner Loop Header: Depth=1
	global_load_u8 v5, v[0:1], off
	s_wait_xcnt 0x0
	v_add_nc_u64_e32 v[0:1], 1, v[0:1]
	s_wait_loadcnt 0x0
	v_cmp_eq_u16_e32 vcc_lo, 0, v5
	s_or_b32 s0, vcc_lo, s0
	s_delay_alu instid0(SALU_CYCLE_1)
	s_and_not1_b32 exec_lo, exec_lo, s0
	s_cbranch_execnz .LBB2_143
; %bb.144:
	s_or_b32 exec_lo, exec_lo, s0
	s_delay_alu instid0(SALU_CYCLE_1)
	s_mov_b32 s0, exec_lo
	v_cmpx_ne_u64_e32 0, v[2:3]
	s_xor_b32 s6, exec_lo, s0
	s_cbranch_execz .LBB2_230
; %bb.145:
	v_dual_sub_nc_u32 v0, v0, v2 :: v_dual_bitop2_b32 v32, 2, v8 bitop3:0x40
	v_mov_b64_e32 v[14:15], 0x100000002
	v_dual_mov_b32 v35, 0 :: v_dual_bitop2_b32 v8, -3, v8 bitop3:0x40
	s_delay_alu instid0(VALU_DEP_3)
	v_ashrrev_i32_e32 v1, 31, v0
	s_mov_b32 s10, 0
	s_mov_b32 s7, 0
	s_branch .LBB2_147
.LBB2_146:                              ;   in Loop: Header=BB2_147 Depth=1
	s_or_b32 exec_lo, exec_lo, s11
	v_sub_nc_u64_e32 v[0:1], v[0:1], v[38:39]
	v_add_nc_u64_e32 v[2:3], v[2:3], v[38:39]
	s_delay_alu instid0(VALU_DEP_2) | instskip(SKIP_1) | instid1(SALU_CYCLE_1)
	v_cmp_eq_u64_e32 vcc_lo, 0, v[0:1]
	s_or_b32 s7, vcc_lo, s7
	s_and_not1_b32 exec_lo, exec_lo, s7
	s_cbranch_execz .LBB2_229
.LBB2_147:                              ; =>This Loop Header: Depth=1
                                        ;     Child Loop BB2_150 Depth 2
                                        ;     Child Loop BB2_158 Depth 2
	;; [unrolled: 1-line block ×11, first 2 shown]
	s_delay_alu instid0(VALU_DEP_1) | instskip(NEXT) | instid1(VALU_DEP_3)
	v_min_u64 v[38:39], v[0:1], 56
	v_add_nc_u64_e32 v[18:19], 8, v[2:3]
	s_mov_b32 s0, exec_lo
	v_cmpx_gt_u64_e32 8, v[0:1]
	s_xor_b32 s4, exec_lo, s0
	s_cbranch_execz .LBB2_153
; %bb.148:                              ;   in Loop: Header=BB2_147 Depth=1
	v_mov_b64_e32 v[10:11], 0
	s_mov_b32 s5, exec_lo
	v_cmpx_ne_u64_e32 0, v[0:1]
	s_cbranch_execz .LBB2_152
; %bb.149:                              ;   in Loop: Header=BB2_147 Depth=1
	v_mov_b64_e32 v[10:11], 0
	v_mov_b64_e32 v[16:17], v[2:3]
	v_lshlrev_b32_e32 v12, 3, v38
	s_mov_b64 s[0:1], 0
	s_mov_b32 s11, 0
.LBB2_150:                              ;   Parent Loop BB2_147 Depth=1
                                        ; =>  This Inner Loop Header: Depth=2
	global_load_u8 v5, v[16:17], off
	v_mov_b32_e32 v19, s10
	s_wait_xcnt 0x0
	v_add_nc_u64_e32 v[16:17], 1, v[16:17]
	s_wait_loadcnt 0x0
	v_and_b32_e32 v18, 0xffff, v5
	s_delay_alu instid0(VALU_DEP_1) | instskip(SKIP_1) | instid1(SALU_CYCLE_1)
	v_lshlrev_b64_e32 v[18:19], s0, v[18:19]
	s_add_nc_u64 s[0:1], s[0:1], 8
	v_cmp_eq_u32_e32 vcc_lo, s0, v12
	s_delay_alu instid0(VALU_DEP_2) | instskip(NEXT) | instid1(VALU_DEP_3)
	v_or_b32_e32 v11, v19, v11
	v_or_b32_e32 v10, v18, v10
	s_or_b32 s11, vcc_lo, s11
	s_delay_alu instid0(SALU_CYCLE_1)
	s_and_not1_b32 exec_lo, exec_lo, s11
	s_cbranch_execnz .LBB2_150
; %bb.151:                              ;   in Loop: Header=BB2_147 Depth=1
	s_or_b32 exec_lo, exec_lo, s11
.LBB2_152:                              ;   in Loop: Header=BB2_147 Depth=1
	s_delay_alu instid0(SALU_CYCLE_1)
	s_or_b32 exec_lo, exec_lo, s5
	v_mov_b64_e32 v[18:19], v[2:3]
.LBB2_153:                              ;   in Loop: Header=BB2_147 Depth=1
	s_or_saveexec_b32 s0, s4
	v_mov_b32_e32 v5, 0
	s_xor_b32 exec_lo, exec_lo, s0
	s_cbranch_execz .LBB2_155
; %bb.154:                              ;   in Loop: Header=BB2_147 Depth=1
	global_load_b64 v[10:11], v[2:3], off
	v_add_nc_u32_e32 v5, -8, v38
.LBB2_155:                              ;   in Loop: Header=BB2_147 Depth=1
	s_wait_xcnt 0x0
	s_or_b32 exec_lo, exec_lo, s0
	v_add_nc_u64_e32 v[12:13], 8, v[18:19]
                                        ; implicit-def: $vgpr16_vgpr17
	s_mov_b32 s0, exec_lo
	v_cmpx_gt_u32_e32 8, v5
	s_xor_b32 s11, exec_lo, s0
	s_cbranch_execz .LBB2_161
; %bb.156:                              ;   in Loop: Header=BB2_147 Depth=1
	v_mov_b64_e32 v[16:17], 0
	s_mov_b32 s12, exec_lo
	v_cmpx_ne_u32_e32 0, v5
	s_cbranch_execz .LBB2_160
; %bb.157:                              ;   in Loop: Header=BB2_147 Depth=1
	v_mov_b64_e32 v[16:17], 0
	s_mov_b64 s[0:1], 0
	s_mov_b32 s13, 0
	s_mov_b64 s[4:5], 0
.LBB2_158:                              ;   Parent Loop BB2_147 Depth=1
                                        ; =>  This Inner Loop Header: Depth=2
	s_delay_alu instid0(SALU_CYCLE_1) | instskip(SKIP_1) | instid1(SALU_CYCLE_1)
	v_add_nc_u64_e32 v[12:13], s[4:5], v[18:19]
	s_add_nc_u64 s[4:5], s[4:5], 1
	v_cmp_eq_u32_e32 vcc_lo, s4, v5
	global_load_u8 v12, v[12:13], off
	s_wait_xcnt 0x0
	v_mov_b32_e32 v13, s10
	s_or_b32 s13, vcc_lo, s13
	s_wait_loadcnt 0x0
	v_and_b32_e32 v12, 0xffff, v12
	s_delay_alu instid0(VALU_DEP_1) | instskip(SKIP_1) | instid1(VALU_DEP_1)
	v_lshlrev_b64_e32 v[12:13], s0, v[12:13]
	s_add_nc_u64 s[0:1], s[0:1], 8
	v_or_b32_e32 v17, v13, v17
	s_delay_alu instid0(VALU_DEP_2)
	v_or_b32_e32 v16, v12, v16
	s_and_not1_b32 exec_lo, exec_lo, s13
	s_cbranch_execnz .LBB2_158
; %bb.159:                              ;   in Loop: Header=BB2_147 Depth=1
	s_or_b32 exec_lo, exec_lo, s13
.LBB2_160:                              ;   in Loop: Header=BB2_147 Depth=1
	s_delay_alu instid0(SALU_CYCLE_1)
	s_or_b32 exec_lo, exec_lo, s12
	v_mov_b64_e32 v[12:13], v[18:19]
                                        ; implicit-def: $vgpr5
.LBB2_161:                              ;   in Loop: Header=BB2_147 Depth=1
	s_or_saveexec_b32 s0, s11
	v_mov_b32_e32 v20, 0
	s_xor_b32 exec_lo, exec_lo, s0
	s_cbranch_execz .LBB2_163
; %bb.162:                              ;   in Loop: Header=BB2_147 Depth=1
	global_load_b64 v[16:17], v[18:19], off
	v_add_nc_u32_e32 v20, -8, v5
.LBB2_163:                              ;   in Loop: Header=BB2_147 Depth=1
	s_wait_xcnt 0x0
	s_or_b32 exec_lo, exec_lo, s0
	v_add_nc_u64_e32 v[22:23], 8, v[12:13]
	s_mov_b32 s0, exec_lo
	v_cmpx_gt_u32_e32 8, v20
	s_xor_b32 s11, exec_lo, s0
	s_cbranch_execz .LBB2_169
; %bb.164:                              ;   in Loop: Header=BB2_147 Depth=1
	v_mov_b64_e32 v[18:19], 0
	s_mov_b32 s12, exec_lo
	v_cmpx_ne_u32_e32 0, v20
	s_cbranch_execz .LBB2_168
; %bb.165:                              ;   in Loop: Header=BB2_147 Depth=1
	v_mov_b64_e32 v[18:19], 0
	s_mov_b64 s[0:1], 0
	s_mov_b32 s13, 0
	s_mov_b64 s[4:5], 0
.LBB2_166:                              ;   Parent Loop BB2_147 Depth=1
                                        ; =>  This Inner Loop Header: Depth=2
	s_delay_alu instid0(SALU_CYCLE_1) | instskip(SKIP_1) | instid1(SALU_CYCLE_1)
	v_add_nc_u64_e32 v[22:23], s[4:5], v[12:13]
	s_add_nc_u64 s[4:5], s[4:5], 1
	v_cmp_eq_u32_e32 vcc_lo, s4, v20
	global_load_u8 v5, v[22:23], off
	s_wait_xcnt 0x0
	v_mov_b32_e32 v23, s10
	s_or_b32 s13, vcc_lo, s13
	s_wait_loadcnt 0x0
	v_and_b32_e32 v22, 0xffff, v5
	s_delay_alu instid0(VALU_DEP_1) | instskip(SKIP_1) | instid1(VALU_DEP_1)
	v_lshlrev_b64_e32 v[22:23], s0, v[22:23]
	s_add_nc_u64 s[0:1], s[0:1], 8
	v_or_b32_e32 v19, v23, v19
	s_delay_alu instid0(VALU_DEP_2)
	v_or_b32_e32 v18, v22, v18
	s_and_not1_b32 exec_lo, exec_lo, s13
	s_cbranch_execnz .LBB2_166
; %bb.167:                              ;   in Loop: Header=BB2_147 Depth=1
	s_or_b32 exec_lo, exec_lo, s13
.LBB2_168:                              ;   in Loop: Header=BB2_147 Depth=1
	s_delay_alu instid0(SALU_CYCLE_1)
	s_or_b32 exec_lo, exec_lo, s12
	v_mov_b64_e32 v[22:23], v[12:13]
                                        ; implicit-def: $vgpr20
.LBB2_169:                              ;   in Loop: Header=BB2_147 Depth=1
	s_or_saveexec_b32 s0, s11
	v_mov_b32_e32 v5, 0
	s_xor_b32 exec_lo, exec_lo, s0
	s_cbranch_execz .LBB2_171
; %bb.170:                              ;   in Loop: Header=BB2_147 Depth=1
	global_load_b64 v[18:19], v[12:13], off
	v_add_nc_u32_e32 v5, -8, v20
.LBB2_171:                              ;   in Loop: Header=BB2_147 Depth=1
	s_wait_xcnt 0x0
	s_or_b32 exec_lo, exec_lo, s0
	v_add_nc_u64_e32 v[12:13], 8, v[22:23]
                                        ; implicit-def: $vgpr20_vgpr21
	s_mov_b32 s0, exec_lo
	v_cmpx_gt_u32_e32 8, v5
	s_xor_b32 s11, exec_lo, s0
	s_cbranch_execz .LBB2_177
; %bb.172:                              ;   in Loop: Header=BB2_147 Depth=1
	v_mov_b64_e32 v[20:21], 0
	s_mov_b32 s12, exec_lo
	v_cmpx_ne_u32_e32 0, v5
	s_cbranch_execz .LBB2_176
; %bb.173:                              ;   in Loop: Header=BB2_147 Depth=1
	v_mov_b64_e32 v[20:21], 0
	s_mov_b64 s[0:1], 0
	s_mov_b32 s13, 0
	s_mov_b64 s[4:5], 0
.LBB2_174:                              ;   Parent Loop BB2_147 Depth=1
                                        ; =>  This Inner Loop Header: Depth=2
	s_delay_alu instid0(SALU_CYCLE_1) | instskip(SKIP_1) | instid1(SALU_CYCLE_1)
	v_add_nc_u64_e32 v[12:13], s[4:5], v[22:23]
	s_add_nc_u64 s[4:5], s[4:5], 1
	v_cmp_eq_u32_e32 vcc_lo, s4, v5
	global_load_u8 v12, v[12:13], off
	s_wait_xcnt 0x0
	v_mov_b32_e32 v13, s10
	s_or_b32 s13, vcc_lo, s13
	s_wait_loadcnt 0x0
	v_and_b32_e32 v12, 0xffff, v12
	s_delay_alu instid0(VALU_DEP_1) | instskip(SKIP_1) | instid1(VALU_DEP_1)
	v_lshlrev_b64_e32 v[12:13], s0, v[12:13]
	s_add_nc_u64 s[0:1], s[0:1], 8
	v_or_b32_e32 v21, v13, v21
	s_delay_alu instid0(VALU_DEP_2)
	v_or_b32_e32 v20, v12, v20
	s_and_not1_b32 exec_lo, exec_lo, s13
	s_cbranch_execnz .LBB2_174
; %bb.175:                              ;   in Loop: Header=BB2_147 Depth=1
	s_or_b32 exec_lo, exec_lo, s13
.LBB2_176:                              ;   in Loop: Header=BB2_147 Depth=1
	s_delay_alu instid0(SALU_CYCLE_1)
	s_or_b32 exec_lo, exec_lo, s12
	v_mov_b64_e32 v[12:13], v[22:23]
                                        ; implicit-def: $vgpr5
.LBB2_177:                              ;   in Loop: Header=BB2_147 Depth=1
	s_or_saveexec_b32 s0, s11
	v_mov_b32_e32 v24, 0
	s_xor_b32 exec_lo, exec_lo, s0
	s_cbranch_execz .LBB2_179
; %bb.178:                              ;   in Loop: Header=BB2_147 Depth=1
	global_load_b64 v[20:21], v[22:23], off
	v_add_nc_u32_e32 v24, -8, v5
.LBB2_179:                              ;   in Loop: Header=BB2_147 Depth=1
	s_wait_xcnt 0x0
	s_or_b32 exec_lo, exec_lo, s0
	v_add_nc_u64_e32 v[26:27], 8, v[12:13]
	s_mov_b32 s0, exec_lo
	v_cmpx_gt_u32_e32 8, v24
	s_xor_b32 s11, exec_lo, s0
	s_cbranch_execz .LBB2_185
; %bb.180:                              ;   in Loop: Header=BB2_147 Depth=1
	v_mov_b64_e32 v[22:23], 0
	s_mov_b32 s12, exec_lo
	v_cmpx_ne_u32_e32 0, v24
	s_cbranch_execz .LBB2_184
; %bb.181:                              ;   in Loop: Header=BB2_147 Depth=1
	v_mov_b64_e32 v[22:23], 0
	s_mov_b64 s[0:1], 0
	s_mov_b32 s13, 0
	s_mov_b64 s[4:5], 0
.LBB2_182:                              ;   Parent Loop BB2_147 Depth=1
                                        ; =>  This Inner Loop Header: Depth=2
	s_delay_alu instid0(SALU_CYCLE_1) | instskip(SKIP_1) | instid1(SALU_CYCLE_1)
	v_add_nc_u64_e32 v[26:27], s[4:5], v[12:13]
	s_add_nc_u64 s[4:5], s[4:5], 1
	v_cmp_eq_u32_e32 vcc_lo, s4, v24
	global_load_u8 v5, v[26:27], off
	s_wait_xcnt 0x0
	v_mov_b32_e32 v27, s10
	s_or_b32 s13, vcc_lo, s13
	s_wait_loadcnt 0x0
	v_and_b32_e32 v26, 0xffff, v5
	s_delay_alu instid0(VALU_DEP_1) | instskip(SKIP_1) | instid1(VALU_DEP_1)
	v_lshlrev_b64_e32 v[26:27], s0, v[26:27]
	s_add_nc_u64 s[0:1], s[0:1], 8
	v_or_b32_e32 v23, v27, v23
	s_delay_alu instid0(VALU_DEP_2)
	v_or_b32_e32 v22, v26, v22
	s_and_not1_b32 exec_lo, exec_lo, s13
	s_cbranch_execnz .LBB2_182
; %bb.183:                              ;   in Loop: Header=BB2_147 Depth=1
	s_or_b32 exec_lo, exec_lo, s13
.LBB2_184:                              ;   in Loop: Header=BB2_147 Depth=1
	s_delay_alu instid0(SALU_CYCLE_1)
	s_or_b32 exec_lo, exec_lo, s12
	v_mov_b64_e32 v[26:27], v[12:13]
                                        ; implicit-def: $vgpr24
.LBB2_185:                              ;   in Loop: Header=BB2_147 Depth=1
	s_or_saveexec_b32 s0, s11
	v_mov_b32_e32 v5, 0
	s_xor_b32 exec_lo, exec_lo, s0
	s_cbranch_execz .LBB2_187
; %bb.186:                              ;   in Loop: Header=BB2_147 Depth=1
	global_load_b64 v[22:23], v[12:13], off
	v_add_nc_u32_e32 v5, -8, v24
.LBB2_187:                              ;   in Loop: Header=BB2_147 Depth=1
	s_wait_xcnt 0x0
	s_or_b32 exec_lo, exec_lo, s0
	v_add_nc_u64_e32 v[12:13], 8, v[26:27]
                                        ; implicit-def: $vgpr24_vgpr25
	s_mov_b32 s0, exec_lo
	v_cmpx_gt_u32_e32 8, v5
	s_xor_b32 s11, exec_lo, s0
	s_cbranch_execz .LBB2_193
; %bb.188:                              ;   in Loop: Header=BB2_147 Depth=1
	v_mov_b64_e32 v[24:25], 0
	s_mov_b32 s12, exec_lo
	v_cmpx_ne_u32_e32 0, v5
	s_cbranch_execz .LBB2_192
; %bb.189:                              ;   in Loop: Header=BB2_147 Depth=1
	v_mov_b64_e32 v[24:25], 0
	s_mov_b64 s[0:1], 0
	s_mov_b32 s13, 0
	s_mov_b64 s[4:5], 0
.LBB2_190:                              ;   Parent Loop BB2_147 Depth=1
                                        ; =>  This Inner Loop Header: Depth=2
	s_delay_alu instid0(SALU_CYCLE_1) | instskip(SKIP_1) | instid1(SALU_CYCLE_1)
	v_add_nc_u64_e32 v[12:13], s[4:5], v[26:27]
	s_add_nc_u64 s[4:5], s[4:5], 1
	v_cmp_eq_u32_e32 vcc_lo, s4, v5
	global_load_u8 v12, v[12:13], off
	s_wait_xcnt 0x0
	v_mov_b32_e32 v13, s10
	s_or_b32 s13, vcc_lo, s13
	s_wait_loadcnt 0x0
	v_and_b32_e32 v12, 0xffff, v12
	s_delay_alu instid0(VALU_DEP_1) | instskip(SKIP_1) | instid1(VALU_DEP_1)
	v_lshlrev_b64_e32 v[12:13], s0, v[12:13]
	s_add_nc_u64 s[0:1], s[0:1], 8
	v_or_b32_e32 v25, v13, v25
	s_delay_alu instid0(VALU_DEP_2)
	v_or_b32_e32 v24, v12, v24
	s_and_not1_b32 exec_lo, exec_lo, s13
	s_cbranch_execnz .LBB2_190
; %bb.191:                              ;   in Loop: Header=BB2_147 Depth=1
	s_or_b32 exec_lo, exec_lo, s13
.LBB2_192:                              ;   in Loop: Header=BB2_147 Depth=1
	s_delay_alu instid0(SALU_CYCLE_1)
	s_or_b32 exec_lo, exec_lo, s12
	v_mov_b64_e32 v[12:13], v[26:27]
                                        ; implicit-def: $vgpr5
.LBB2_193:                              ;   in Loop: Header=BB2_147 Depth=1
	s_or_saveexec_b32 s0, s11
	v_mov_b32_e32 v28, 0
	s_xor_b32 exec_lo, exec_lo, s0
	s_cbranch_execz .LBB2_195
; %bb.194:                              ;   in Loop: Header=BB2_147 Depth=1
	global_load_b64 v[24:25], v[26:27], off
	v_add_nc_u32_e32 v28, -8, v5
.LBB2_195:                              ;   in Loop: Header=BB2_147 Depth=1
	s_wait_xcnt 0x0
	s_or_b32 exec_lo, exec_lo, s0
	s_delay_alu instid0(SALU_CYCLE_1) | instskip(NEXT) | instid1(VALU_DEP_1)
	s_mov_b32 s0, exec_lo
	v_cmpx_gt_u32_e32 8, v28
	s_xor_b32 s4, exec_lo, s0
	s_cbranch_execz .LBB2_201
; %bb.196:                              ;   in Loop: Header=BB2_147 Depth=1
	v_mov_b64_e32 v[26:27], 0
	s_mov_b32 s5, exec_lo
	v_cmpx_ne_u32_e32 0, v28
	s_cbranch_execz .LBB2_200
; %bb.197:                              ;   in Loop: Header=BB2_147 Depth=1
	v_mov_b64_e32 v[26:27], 0
	s_mov_b64 s[0:1], 0
	s_mov_b32 s11, 0
.LBB2_198:                              ;   Parent Loop BB2_147 Depth=1
                                        ; =>  This Inner Loop Header: Depth=2
	global_load_u8 v5, v[12:13], off
	v_dual_mov_b32 v31, s10 :: v_dual_add_nc_u32 v28, -1, v28
	s_wait_xcnt 0x0
	v_add_nc_u64_e32 v[12:13], 1, v[12:13]
	s_delay_alu instid0(VALU_DEP_2) | instskip(SKIP_3) | instid1(VALU_DEP_1)
	v_cmp_eq_u32_e32 vcc_lo, 0, v28
	s_or_b32 s11, vcc_lo, s11
	s_wait_loadcnt 0x0
	v_and_b32_e32 v30, 0xffff, v5
	v_lshlrev_b64_e32 v[30:31], s0, v[30:31]
	s_add_nc_u64 s[0:1], s[0:1], 8
	s_delay_alu instid0(VALU_DEP_1) | instskip(NEXT) | instid1(VALU_DEP_2)
	v_or_b32_e32 v27, v31, v27
	v_or_b32_e32 v26, v30, v26
	s_and_not1_b32 exec_lo, exec_lo, s11
	s_cbranch_execnz .LBB2_198
; %bb.199:                              ;   in Loop: Header=BB2_147 Depth=1
	s_or_b32 exec_lo, exec_lo, s11
.LBB2_200:                              ;   in Loop: Header=BB2_147 Depth=1
	s_delay_alu instid0(SALU_CYCLE_1)
	s_or_b32 exec_lo, exec_lo, s5
                                        ; implicit-def: $vgpr12_vgpr13
.LBB2_201:                              ;   in Loop: Header=BB2_147 Depth=1
	s_and_not1_saveexec_b32 s0, s4
	s_cbranch_execz .LBB2_203
; %bb.202:                              ;   in Loop: Header=BB2_147 Depth=1
	global_load_b64 v[26:27], v[12:13], off
.LBB2_203:                              ;   in Loop: Header=BB2_147 Depth=1
	s_wait_xcnt 0x0
	s_or_b32 exec_lo, exec_lo, s0
	v_readfirstlane_b32 s0, v54
	v_mov_b64_e32 v[12:13], 0
	s_delay_alu instid0(VALU_DEP_2)
	v_cmp_eq_u32_e64 s0, s0, v54
	s_and_saveexec_b32 s1, s0
	s_cbranch_execz .LBB2_209
; %bb.204:                              ;   in Loop: Header=BB2_147 Depth=1
	global_load_b64 v[30:31], v35, s[2:3] offset:24 scope:SCOPE_SYS
	s_wait_loadcnt 0x0
	global_inv scope:SCOPE_SYS
	s_clause 0x1
	global_load_b64 v[12:13], v35, s[2:3] offset:40
	global_load_b64 v[28:29], v35, s[2:3]
	s_mov_b32 s4, exec_lo
	s_wait_loadcnt 0x1
	v_and_b32_e32 v12, v12, v30
	v_and_b32_e32 v13, v13, v31
	s_delay_alu instid0(VALU_DEP_1) | instskip(SKIP_1) | instid1(VALU_DEP_1)
	v_mul_u64_e32 v[12:13], 24, v[12:13]
	s_wait_loadcnt 0x0
	v_add_nc_u64_e32 v[12:13], v[28:29], v[12:13]
	global_load_b64 v[28:29], v[12:13], off scope:SCOPE_SYS
	s_wait_xcnt 0x0
	s_wait_loadcnt 0x0
	global_atomic_cmpswap_b64 v[12:13], v35, v[28:31], s[2:3] offset:24 th:TH_ATOMIC_RETURN scope:SCOPE_SYS
	s_wait_loadcnt 0x0
	global_inv scope:SCOPE_SYS
	s_wait_xcnt 0x0
	v_cmpx_ne_u64_e64 v[12:13], v[30:31]
	s_cbranch_execz .LBB2_208
; %bb.205:                              ;   in Loop: Header=BB2_147 Depth=1
	s_mov_b32 s5, 0
.LBB2_206:                              ;   Parent Loop BB2_147 Depth=1
                                        ; =>  This Inner Loop Header: Depth=2
	s_sleep 1
	s_clause 0x1
	global_load_b64 v[28:29], v35, s[2:3] offset:40
	global_load_b64 v[48:49], v35, s[2:3]
	v_mov_b64_e32 v[30:31], v[12:13]
	s_wait_loadcnt 0x1
	s_delay_alu instid0(VALU_DEP_1) | instskip(SKIP_1) | instid1(VALU_DEP_1)
	v_and_b32_e32 v5, v28, v30
	s_wait_loadcnt 0x0
	v_mad_nc_u64_u32 v[12:13], v5, 24, v[48:49]
	s_delay_alu instid0(VALU_DEP_3) | instskip(NEXT) | instid1(VALU_DEP_1)
	v_and_b32_e32 v5, v29, v31
	v_mad_u32 v13, v5, 24, v13
	global_load_b64 v[28:29], v[12:13], off scope:SCOPE_SYS
	s_wait_xcnt 0x0
	s_wait_loadcnt 0x0
	global_atomic_cmpswap_b64 v[12:13], v35, v[28:31], s[2:3] offset:24 th:TH_ATOMIC_RETURN scope:SCOPE_SYS
	s_wait_loadcnt 0x0
	global_inv scope:SCOPE_SYS
	v_cmp_eq_u64_e32 vcc_lo, v[12:13], v[30:31]
	s_or_b32 s5, vcc_lo, s5
	s_wait_xcnt 0x0
	s_and_not1_b32 exec_lo, exec_lo, s5
	s_cbranch_execnz .LBB2_206
; %bb.207:                              ;   in Loop: Header=BB2_147 Depth=1
	s_or_b32 exec_lo, exec_lo, s5
.LBB2_208:                              ;   in Loop: Header=BB2_147 Depth=1
	s_delay_alu instid0(SALU_CYCLE_1)
	s_or_b32 exec_lo, exec_lo, s4
.LBB2_209:                              ;   in Loop: Header=BB2_147 Depth=1
	s_delay_alu instid0(SALU_CYCLE_1)
	s_or_b32 exec_lo, exec_lo, s1
	s_clause 0x1
	global_load_b64 v[48:49], v35, s[2:3] offset:40
	global_load_b128 v[28:31], v35, s[2:3]
	v_readfirstlane_b32 s4, v12
	v_readfirstlane_b32 s5, v13
	s_mov_b32 s1, exec_lo
	s_wait_loadcnt 0x1
	v_and_b32_e32 v50, s4, v48
	v_and_b32_e32 v51, s5, v49
	s_delay_alu instid0(VALU_DEP_1) | instskip(SKIP_1) | instid1(VALU_DEP_1)
	v_mul_u64_e32 v[12:13], 24, v[50:51]
	s_wait_loadcnt 0x0
	v_add_nc_u64_e32 v[48:49], v[28:29], v[12:13]
	s_wait_xcnt 0x0
	s_and_saveexec_b32 s11, s0
	s_cbranch_execz .LBB2_211
; %bb.210:                              ;   in Loop: Header=BB2_147 Depth=1
	v_dual_mov_b32 v12, s1 :: v_dual_mov_b32 v13, v35
	global_store_b128 v[48:49], v[12:15], off offset:8
.LBB2_211:                              ;   in Loop: Header=BB2_147 Depth=1
	s_wait_xcnt 0x0
	s_or_b32 exec_lo, exec_lo, s11
	v_cmp_gt_u64_e32 vcc_lo, 57, v[0:1]
	v_lshlrev_b64_e32 v[12:13], 12, v[50:51]
	v_and_b32_e32 v8, 0xffffff1f, v8
	v_lshl_add_u32 v33, v38, 2, 28
	v_cndmask_b32_e32 v5, 0, v32, vcc_lo
	s_delay_alu instid0(VALU_DEP_4) | instskip(NEXT) | instid1(VALU_DEP_2)
	v_add_nc_u64_e32 v[12:13], v[30:31], v[12:13]
	v_or_b32_e32 v5, v8, v5
	s_delay_alu instid0(VALU_DEP_2) | instskip(NEXT) | instid1(VALU_DEP_3)
	v_readfirstlane_b32 s12, v12
	v_readfirstlane_b32 s13, v13
	s_delay_alu instid0(VALU_DEP_3)
	v_and_or_b32 v8, 0x1e0, v33, v5
	s_clause 0x3
	global_store_b128 v34, v[8:11], s[12:13]
	global_store_b128 v34, v[16:19], s[12:13] offset:16
	global_store_b128 v34, v[20:23], s[12:13] offset:32
	;; [unrolled: 1-line block ×3, first 2 shown]
	s_wait_xcnt 0x0
	s_and_saveexec_b32 s1, s0
	s_cbranch_execz .LBB2_219
; %bb.212:                              ;   in Loop: Header=BB2_147 Depth=1
	s_clause 0x1
	global_load_b64 v[20:21], v35, s[2:3] offset:32 scope:SCOPE_SYS
	global_load_b64 v[8:9], v35, s[2:3] offset:40
	s_mov_b32 s11, exec_lo
	v_dual_mov_b32 v18, s4 :: v_dual_mov_b32 v19, s5
	s_wait_loadcnt 0x0
	v_and_b32_e32 v9, s5, v9
	v_and_b32_e32 v8, s4, v8
	s_delay_alu instid0(VALU_DEP_1) | instskip(NEXT) | instid1(VALU_DEP_1)
	v_mul_u64_e32 v[8:9], 24, v[8:9]
	v_add_nc_u64_e32 v[16:17], v[28:29], v[8:9]
	global_store_b64 v[16:17], v[20:21], off
	global_wb scope:SCOPE_SYS
	s_wait_storecnt 0x0
	s_wait_xcnt 0x0
	global_atomic_cmpswap_b64 v[10:11], v35, v[18:21], s[2:3] offset:32 th:TH_ATOMIC_RETURN scope:SCOPE_SYS
	s_wait_loadcnt 0x0
	v_cmpx_ne_u64_e64 v[10:11], v[20:21]
	s_cbranch_execz .LBB2_215
; %bb.213:                              ;   in Loop: Header=BB2_147 Depth=1
	s_mov_b32 s12, 0
.LBB2_214:                              ;   Parent Loop BB2_147 Depth=1
                                        ; =>  This Inner Loop Header: Depth=2
	v_dual_mov_b32 v8, s4 :: v_dual_mov_b32 v9, s5
	s_sleep 1
	global_store_b64 v[16:17], v[10:11], off
	global_wb scope:SCOPE_SYS
	s_wait_storecnt 0x0
	s_wait_xcnt 0x0
	global_atomic_cmpswap_b64 v[8:9], v35, v[8:11], s[2:3] offset:32 th:TH_ATOMIC_RETURN scope:SCOPE_SYS
	s_wait_loadcnt 0x0
	v_cmp_eq_u64_e32 vcc_lo, v[8:9], v[10:11]
	v_mov_b64_e32 v[10:11], v[8:9]
	s_or_b32 s12, vcc_lo, s12
	s_delay_alu instid0(SALU_CYCLE_1)
	s_and_not1_b32 exec_lo, exec_lo, s12
	s_cbranch_execnz .LBB2_214
.LBB2_215:                              ;   in Loop: Header=BB2_147 Depth=1
	s_or_b32 exec_lo, exec_lo, s11
	global_load_b64 v[8:9], v35, s[2:3] offset:16
	s_mov_b32 s12, exec_lo
	s_mov_b32 s11, exec_lo
	v_mbcnt_lo_u32_b32 v5, s12, 0
	s_wait_xcnt 0x0
	s_delay_alu instid0(VALU_DEP_1)
	v_cmpx_eq_u32_e32 0, v5
	s_cbranch_execz .LBB2_217
; %bb.216:                              ;   in Loop: Header=BB2_147 Depth=1
	s_bcnt1_i32_b32 s12, s12
	s_delay_alu instid0(SALU_CYCLE_1)
	v_dual_mov_b32 v11, v35 :: v_dual_mov_b32 v10, s12
	global_wb scope:SCOPE_SYS
	s_wait_loadcnt 0x0
	s_wait_storecnt 0x0
	global_atomic_add_u64 v[8:9], v[10:11], off offset:8 scope:SCOPE_SYS
.LBB2_217:                              ;   in Loop: Header=BB2_147 Depth=1
	s_wait_xcnt 0x0
	s_or_b32 exec_lo, exec_lo, s11
	s_wait_loadcnt 0x0
	global_load_b64 v[10:11], v[8:9], off offset:16
	s_wait_loadcnt 0x0
	v_cmp_eq_u64_e32 vcc_lo, 0, v[10:11]
	s_cbranch_vccnz .LBB2_219
; %bb.218:                              ;   in Loop: Header=BB2_147 Depth=1
	global_load_b32 v8, v[8:9], off offset:24
	s_wait_xcnt 0x0
	v_mov_b32_e32 v9, v35
	s_wait_loadcnt 0x0
	v_readfirstlane_b32 s11, v8
	global_wb scope:SCOPE_SYS
	s_wait_storecnt 0x0
	global_store_b64 v[10:11], v[8:9], off scope:SCOPE_SYS
	s_and_b32 m0, s11, 0xffffff
	s_sendmsg sendmsg(MSG_INTERRUPT)
.LBB2_219:                              ;   in Loop: Header=BB2_147 Depth=1
	s_wait_xcnt 0x0
	s_or_b32 exec_lo, exec_lo, s1
	v_add_nc_u64_e32 v[8:9], v[12:13], v[34:35]
	s_branch .LBB2_223
.LBB2_220:                              ;   in Loop: Header=BB2_223 Depth=2
	s_wait_xcnt 0x0
	s_or_b32 exec_lo, exec_lo, s1
	s_delay_alu instid0(VALU_DEP_1)
	v_readfirstlane_b32 s1, v5
	s_cmp_eq_u32 s1, 0
	s_cbranch_scc1 .LBB2_222
; %bb.221:                              ;   in Loop: Header=BB2_223 Depth=2
	s_sleep 1
	s_cbranch_execnz .LBB2_223
	s_branch .LBB2_225
.LBB2_222:                              ;   in Loop: Header=BB2_147 Depth=1
	s_branch .LBB2_225
.LBB2_223:                              ;   Parent Loop BB2_147 Depth=1
                                        ; =>  This Inner Loop Header: Depth=2
	v_mov_b32_e32 v5, 1
	s_and_saveexec_b32 s1, s0
	s_cbranch_execz .LBB2_220
; %bb.224:                              ;   in Loop: Header=BB2_223 Depth=2
	global_load_b32 v5, v[48:49], off offset:20 scope:SCOPE_SYS
	s_wait_loadcnt 0x0
	global_inv scope:SCOPE_SYS
	v_and_b32_e32 v5, 1, v5
	s_branch .LBB2_220
.LBB2_225:                              ;   in Loop: Header=BB2_147 Depth=1
	global_load_b64 v[8:9], v[8:9], off
	s_wait_xcnt 0x0
	s_and_saveexec_b32 s11, s0
	s_cbranch_execz .LBB2_146
; %bb.226:                              ;   in Loop: Header=BB2_147 Depth=1
	s_clause 0x2
	global_load_b64 v[10:11], v35, s[2:3] offset:40
	global_load_b64 v[20:21], v35, s[2:3] offset:24 scope:SCOPE_SYS
	global_load_b64 v[12:13], v35, s[2:3]
	s_wait_loadcnt 0x2
	v_readfirstlane_b32 s12, v10
	v_readfirstlane_b32 s13, v11
	s_add_nc_u64 s[0:1], s[12:13], 1
	s_delay_alu instid0(SALU_CYCLE_1) | instskip(NEXT) | instid1(SALU_CYCLE_1)
	s_add_nc_u64 s[4:5], s[0:1], s[4:5]
	s_cmp_eq_u64 s[4:5], 0
	s_cselect_b32 s1, s1, s5
	s_cselect_b32 s0, s0, s4
	s_delay_alu instid0(SALU_CYCLE_1) | instskip(SKIP_1) | instid1(SALU_CYCLE_1)
	v_dual_mov_b32 v19, s1 :: v_dual_mov_b32 v18, s0
	s_and_b64 s[4:5], s[0:1], s[12:13]
	s_mul_u64 s[4:5], s[4:5], 24
	s_wait_loadcnt 0x0
	v_add_nc_u64_e32 v[16:17], s[4:5], v[12:13]
	global_store_b64 v[16:17], v[20:21], off
	global_wb scope:SCOPE_SYS
	s_wait_storecnt 0x0
	s_wait_xcnt 0x0
	global_atomic_cmpswap_b64 v[12:13], v35, v[18:21], s[2:3] offset:24 th:TH_ATOMIC_RETURN scope:SCOPE_SYS
	s_wait_loadcnt 0x0
	v_cmp_ne_u64_e32 vcc_lo, v[12:13], v[20:21]
	s_and_b32 exec_lo, exec_lo, vcc_lo
	s_cbranch_execz .LBB2_146
; %bb.227:                              ;   in Loop: Header=BB2_147 Depth=1
	s_mov_b32 s4, 0
.LBB2_228:                              ;   Parent Loop BB2_147 Depth=1
                                        ; =>  This Inner Loop Header: Depth=2
	v_dual_mov_b32 v10, s0 :: v_dual_mov_b32 v11, s1
	s_sleep 1
	global_store_b64 v[16:17], v[12:13], off
	global_wb scope:SCOPE_SYS
	s_wait_storecnt 0x0
	s_wait_xcnt 0x0
	global_atomic_cmpswap_b64 v[10:11], v35, v[10:13], s[2:3] offset:24 th:TH_ATOMIC_RETURN scope:SCOPE_SYS
	s_wait_loadcnt 0x0
	v_cmp_eq_u64_e32 vcc_lo, v[10:11], v[12:13]
	v_mov_b64_e32 v[12:13], v[10:11]
	s_or_b32 s4, vcc_lo, s4
	s_delay_alu instid0(SALU_CYCLE_1)
	s_and_not1_b32 exec_lo, exec_lo, s4
	s_cbranch_execnz .LBB2_228
	s_branch .LBB2_146
.LBB2_229:
	s_or_b32 exec_lo, exec_lo, s7
.LBB2_230:
	s_and_not1_saveexec_b32 s6, s6
	s_cbranch_execz .LBB2_258
; %bb.231:
	v_readfirstlane_b32 s0, v54
	v_mov_b64_e32 v[10:11], 0
	s_delay_alu instid0(VALU_DEP_2)
	v_cmp_eq_u32_e64 s0, s0, v54
	s_and_saveexec_b32 s1, s0
	s_cbranch_execz .LBB2_237
; %bb.232:
	v_mov_b32_e32 v0, 0
	s_mov_b32 s4, exec_lo
	global_load_b64 v[12:13], v0, s[2:3] offset:24 scope:SCOPE_SYS
	s_wait_loadcnt 0x0
	global_inv scope:SCOPE_SYS
	s_clause 0x1
	global_load_b64 v[2:3], v0, s[2:3] offset:40
	global_load_b64 v[10:11], v0, s[2:3]
	s_wait_loadcnt 0x1
	v_and_b32_e32 v2, v2, v12
	v_and_b32_e32 v3, v3, v13
	s_delay_alu instid0(VALU_DEP_1) | instskip(SKIP_1) | instid1(VALU_DEP_1)
	v_mul_u64_e32 v[2:3], 24, v[2:3]
	s_wait_loadcnt 0x0
	v_add_nc_u64_e32 v[2:3], v[10:11], v[2:3]
	global_load_b64 v[10:11], v[2:3], off scope:SCOPE_SYS
	s_wait_xcnt 0x0
	s_wait_loadcnt 0x0
	global_atomic_cmpswap_b64 v[10:11], v0, v[10:13], s[2:3] offset:24 th:TH_ATOMIC_RETURN scope:SCOPE_SYS
	s_wait_loadcnt 0x0
	global_inv scope:SCOPE_SYS
	s_wait_xcnt 0x0
	v_cmpx_ne_u64_e64 v[10:11], v[12:13]
	s_cbranch_execz .LBB2_236
; %bb.233:
	s_mov_b32 s5, 0
.LBB2_234:                              ; =>This Inner Loop Header: Depth=1
	s_sleep 1
	s_clause 0x1
	global_load_b64 v[2:3], v0, s[2:3] offset:40
	global_load_b64 v[14:15], v0, s[2:3]
	v_mov_b64_e32 v[12:13], v[10:11]
	s_wait_loadcnt 0x1
	s_delay_alu instid0(VALU_DEP_1) | instskip(SKIP_1) | instid1(VALU_DEP_1)
	v_and_b32_e32 v1, v2, v12
	s_wait_loadcnt 0x0
	v_mad_nc_u64_u32 v[10:11], v1, 24, v[14:15]
	s_delay_alu instid0(VALU_DEP_3) | instskip(NEXT) | instid1(VALU_DEP_1)
	v_and_b32_e32 v1, v3, v13
	v_mad_u32 v11, v1, 24, v11
	global_load_b64 v[10:11], v[10:11], off scope:SCOPE_SYS
	s_wait_xcnt 0x0
	s_wait_loadcnt 0x0
	global_atomic_cmpswap_b64 v[10:11], v0, v[10:13], s[2:3] offset:24 th:TH_ATOMIC_RETURN scope:SCOPE_SYS
	s_wait_loadcnt 0x0
	global_inv scope:SCOPE_SYS
	v_cmp_eq_u64_e32 vcc_lo, v[10:11], v[12:13]
	s_or_b32 s5, vcc_lo, s5
	s_wait_xcnt 0x0
	s_and_not1_b32 exec_lo, exec_lo, s5
	s_cbranch_execnz .LBB2_234
; %bb.235:
	s_or_b32 exec_lo, exec_lo, s5
.LBB2_236:
	s_delay_alu instid0(SALU_CYCLE_1)
	s_or_b32 exec_lo, exec_lo, s4
.LBB2_237:
	s_delay_alu instid0(SALU_CYCLE_1)
	s_or_b32 exec_lo, exec_lo, s1
	v_readfirstlane_b32 s4, v10
	v_mov_b32_e32 v35, 0
	v_readfirstlane_b32 s5, v11
	s_mov_b32 s1, exec_lo
	s_clause 0x1
	global_load_b64 v[12:13], v35, s[2:3] offset:40
	global_load_b128 v[0:3], v35, s[2:3]
	s_wait_loadcnt 0x1
	v_and_b32_e32 v10, s4, v12
	v_and_b32_e32 v11, s5, v13
	s_delay_alu instid0(VALU_DEP_1) | instskip(SKIP_1) | instid1(VALU_DEP_1)
	v_mul_u64_e32 v[12:13], 24, v[10:11]
	s_wait_loadcnt 0x0
	v_add_nc_u64_e32 v[12:13], v[0:1], v[12:13]
	s_wait_xcnt 0x0
	s_and_saveexec_b32 s7, s0
	s_cbranch_execz .LBB2_239
; %bb.238:
	v_mov_b64_e32 v[16:17], 0x100000002
	v_dual_mov_b32 v14, s1 :: v_dual_mov_b32 v15, v35
	global_store_b128 v[12:13], v[14:17], off offset:8
.LBB2_239:
	s_wait_xcnt 0x0
	s_or_b32 exec_lo, exec_lo, s7
	v_lshlrev_b64_e32 v[10:11], 12, v[10:11]
	s_mov_b32 s12, 0
	v_and_or_b32 v8, 0xffffff1f, v8, 32
	s_mov_b32 s14, s12
	s_mov_b32 s15, s12
	;; [unrolled: 1-line block ×3, first 2 shown]
	v_mov_b64_e32 v[18:19], s[14:15]
	v_add_nc_u64_e32 v[14:15], v[2:3], v[10:11]
	v_mov_b64_e32 v[16:17], s[12:13]
	v_dual_mov_b32 v10, v35 :: v_dual_mov_b32 v11, v35
	s_delay_alu instid0(VALU_DEP_3) | instskip(NEXT) | instid1(VALU_DEP_4)
	v_readfirstlane_b32 s10, v14
	v_readfirstlane_b32 s11, v15
	s_clause 0x3
	global_store_b128 v34, v[8:11], s[10:11]
	global_store_b128 v34, v[16:19], s[10:11] offset:16
	global_store_b128 v34, v[16:19], s[10:11] offset:32
	;; [unrolled: 1-line block ×3, first 2 shown]
	s_wait_xcnt 0x0
	s_and_saveexec_b32 s1, s0
	s_cbranch_execz .LBB2_247
; %bb.240:
	v_dual_mov_b32 v5, 0 :: v_dual_mov_b32 v17, s5
	s_mov_b32 s7, exec_lo
	s_clause 0x1
	global_load_b64 v[18:19], v5, s[2:3] offset:32 scope:SCOPE_SYS
	global_load_b64 v[2:3], v5, s[2:3] offset:40
	s_wait_loadcnt 0x0
	v_dual_mov_b32 v16, s4 :: v_dual_bitop2_b32 v3, s5, v3 bitop3:0x40
	v_and_b32_e32 v2, s4, v2
	s_delay_alu instid0(VALU_DEP_1) | instskip(NEXT) | instid1(VALU_DEP_1)
	v_mul_u64_e32 v[2:3], 24, v[2:3]
	v_add_nc_u64_e32 v[8:9], v[0:1], v[2:3]
	global_store_b64 v[8:9], v[18:19], off
	global_wb scope:SCOPE_SYS
	s_wait_storecnt 0x0
	s_wait_xcnt 0x0
	global_atomic_cmpswap_b64 v[2:3], v5, v[16:19], s[2:3] offset:32 th:TH_ATOMIC_RETURN scope:SCOPE_SYS
	s_wait_loadcnt 0x0
	v_cmpx_ne_u64_e64 v[2:3], v[18:19]
	s_cbranch_execz .LBB2_243
; %bb.241:
	s_mov_b32 s10, 0
.LBB2_242:                              ; =>This Inner Loop Header: Depth=1
	v_dual_mov_b32 v0, s4 :: v_dual_mov_b32 v1, s5
	s_sleep 1
	global_store_b64 v[8:9], v[2:3], off
	global_wb scope:SCOPE_SYS
	s_wait_storecnt 0x0
	s_wait_xcnt 0x0
	global_atomic_cmpswap_b64 v[0:1], v5, v[0:3], s[2:3] offset:32 th:TH_ATOMIC_RETURN scope:SCOPE_SYS
	s_wait_loadcnt 0x0
	v_cmp_eq_u64_e32 vcc_lo, v[0:1], v[2:3]
	v_mov_b64_e32 v[2:3], v[0:1]
	s_or_b32 s10, vcc_lo, s10
	s_delay_alu instid0(SALU_CYCLE_1)
	s_and_not1_b32 exec_lo, exec_lo, s10
	s_cbranch_execnz .LBB2_242
.LBB2_243:
	s_or_b32 exec_lo, exec_lo, s7
	v_mov_b32_e32 v3, 0
	s_mov_b32 s10, exec_lo
	s_mov_b32 s7, exec_lo
	v_mbcnt_lo_u32_b32 v2, s10, 0
	global_load_b64 v[0:1], v3, s[2:3] offset:16
	s_wait_xcnt 0x0
	v_cmpx_eq_u32_e32 0, v2
	s_cbranch_execz .LBB2_245
; %bb.244:
	s_bcnt1_i32_b32 s10, s10
	s_delay_alu instid0(SALU_CYCLE_1)
	v_mov_b32_e32 v2, s10
	global_wb scope:SCOPE_SYS
	s_wait_loadcnt 0x0
	s_wait_storecnt 0x0
	global_atomic_add_u64 v[0:1], v[2:3], off offset:8 scope:SCOPE_SYS
.LBB2_245:
	s_wait_xcnt 0x0
	s_or_b32 exec_lo, exec_lo, s7
	s_wait_loadcnt 0x0
	global_load_b64 v[2:3], v[0:1], off offset:16
	s_wait_loadcnt 0x0
	v_cmp_eq_u64_e32 vcc_lo, 0, v[2:3]
	s_cbranch_vccnz .LBB2_247
; %bb.246:
	global_load_b32 v0, v[0:1], off offset:24
	s_wait_xcnt 0x0
	v_mov_b32_e32 v1, 0
	s_wait_loadcnt 0x0
	v_readfirstlane_b32 s7, v0
	global_wb scope:SCOPE_SYS
	s_wait_storecnt 0x0
	global_store_b64 v[2:3], v[0:1], off scope:SCOPE_SYS
	s_and_b32 m0, s7, 0xffffff
	s_sendmsg sendmsg(MSG_INTERRUPT)
.LBB2_247:
	s_wait_xcnt 0x0
	s_or_b32 exec_lo, exec_lo, s1
	v_add_nc_u64_e32 v[0:1], v[14:15], v[34:35]
	s_branch .LBB2_251
.LBB2_248:                              ;   in Loop: Header=BB2_251 Depth=1
	s_wait_xcnt 0x0
	s_or_b32 exec_lo, exec_lo, s1
	s_delay_alu instid0(VALU_DEP_1)
	v_readfirstlane_b32 s1, v2
	s_cmp_eq_u32 s1, 0
	s_cbranch_scc1 .LBB2_250
; %bb.249:                              ;   in Loop: Header=BB2_251 Depth=1
	s_sleep 1
	s_cbranch_execnz .LBB2_251
	s_branch .LBB2_253
.LBB2_250:
	s_branch .LBB2_253
.LBB2_251:                              ; =>This Inner Loop Header: Depth=1
	v_mov_b32_e32 v2, 1
	s_and_saveexec_b32 s1, s0
	s_cbranch_execz .LBB2_248
; %bb.252:                              ;   in Loop: Header=BB2_251 Depth=1
	global_load_b32 v2, v[12:13], off offset:20 scope:SCOPE_SYS
	s_wait_loadcnt 0x0
	global_inv scope:SCOPE_SYS
	v_and_b32_e32 v2, 1, v2
	s_branch .LBB2_248
.LBB2_253:
	global_load_b64 v[8:9], v[0:1], off
	s_wait_xcnt 0x0
	s_and_saveexec_b32 s7, s0
	s_cbranch_execz .LBB2_257
; %bb.254:
	v_mov_b32_e32 v5, 0
	s_clause 0x2
	global_load_b64 v[0:1], v5, s[2:3] offset:40
	global_load_b64 v[14:15], v5, s[2:3] offset:24 scope:SCOPE_SYS
	global_load_b64 v[2:3], v5, s[2:3]
	s_wait_loadcnt 0x2
	v_readfirstlane_b32 s10, v0
	v_readfirstlane_b32 s11, v1
	s_add_nc_u64 s[0:1], s[10:11], 1
	s_delay_alu instid0(SALU_CYCLE_1) | instskip(NEXT) | instid1(SALU_CYCLE_1)
	s_add_nc_u64 s[4:5], s[0:1], s[4:5]
	s_cmp_eq_u64 s[4:5], 0
	s_cselect_b32 s1, s1, s5
	s_cselect_b32 s0, s0, s4
	v_mov_b32_e32 v13, s1
	s_and_b64 s[4:5], s[0:1], s[10:11]
	v_mov_b32_e32 v12, s0
	s_mul_u64 s[4:5], s[4:5], 24
	s_wait_loadcnt 0x0
	v_add_nc_u64_e32 v[10:11], s[4:5], v[2:3]
	global_store_b64 v[10:11], v[14:15], off
	global_wb scope:SCOPE_SYS
	s_wait_storecnt 0x0
	s_wait_xcnt 0x0
	global_atomic_cmpswap_b64 v[2:3], v5, v[12:15], s[2:3] offset:24 th:TH_ATOMIC_RETURN scope:SCOPE_SYS
	s_wait_loadcnt 0x0
	v_cmp_ne_u64_e32 vcc_lo, v[2:3], v[14:15]
	s_and_b32 exec_lo, exec_lo, vcc_lo
	s_cbranch_execz .LBB2_257
; %bb.255:
	s_mov_b32 s4, 0
.LBB2_256:                              ; =>This Inner Loop Header: Depth=1
	v_dual_mov_b32 v0, s0 :: v_dual_mov_b32 v1, s1
	s_sleep 1
	global_store_b64 v[10:11], v[2:3], off
	global_wb scope:SCOPE_SYS
	s_wait_storecnt 0x0
	s_wait_xcnt 0x0
	global_atomic_cmpswap_b64 v[0:1], v5, v[0:3], s[2:3] offset:24 th:TH_ATOMIC_RETURN scope:SCOPE_SYS
	s_wait_loadcnt 0x0
	v_cmp_eq_u64_e32 vcc_lo, v[0:1], v[2:3]
	v_mov_b64_e32 v[2:3], v[0:1]
	s_or_b32 s4, vcc_lo, s4
	s_delay_alu instid0(SALU_CYCLE_1)
	s_and_not1_b32 exec_lo, exec_lo, s4
	s_cbranch_execnz .LBB2_256
.LBB2_257:
	s_or_b32 exec_lo, exec_lo, s7
.LBB2_258:
	s_delay_alu instid0(SALU_CYCLE_1) | instskip(SKIP_2) | instid1(VALU_DEP_2)
	s_or_b32 exec_lo, exec_lo, s6
	v_readfirstlane_b32 s0, v54
	v_mov_b64_e32 v[10:11], 0
	v_cmp_eq_u32_e64 s0, s0, v54
	s_and_saveexec_b32 s1, s0
	s_cbranch_execz .LBB2_264
; %bb.259:
	v_mov_b32_e32 v0, 0
	s_mov_b32 s4, exec_lo
	global_load_b64 v[12:13], v0, s[2:3] offset:24 scope:SCOPE_SYS
	s_wait_loadcnt 0x0
	global_inv scope:SCOPE_SYS
	s_clause 0x1
	global_load_b64 v[2:3], v0, s[2:3] offset:40
	global_load_b64 v[10:11], v0, s[2:3]
	s_wait_loadcnt 0x1
	v_and_b32_e32 v2, v2, v12
	v_and_b32_e32 v3, v3, v13
	s_delay_alu instid0(VALU_DEP_1) | instskip(SKIP_1) | instid1(VALU_DEP_1)
	v_mul_u64_e32 v[2:3], 24, v[2:3]
	s_wait_loadcnt 0x0
	v_add_nc_u64_e32 v[2:3], v[10:11], v[2:3]
	global_load_b64 v[10:11], v[2:3], off scope:SCOPE_SYS
	s_wait_xcnt 0x0
	s_wait_loadcnt 0x0
	global_atomic_cmpswap_b64 v[10:11], v0, v[10:13], s[2:3] offset:24 th:TH_ATOMIC_RETURN scope:SCOPE_SYS
	s_wait_loadcnt 0x0
	global_inv scope:SCOPE_SYS
	s_wait_xcnt 0x0
	v_cmpx_ne_u64_e64 v[10:11], v[12:13]
	s_cbranch_execz .LBB2_263
; %bb.260:
	s_mov_b32 s5, 0
.LBB2_261:                              ; =>This Inner Loop Header: Depth=1
	s_sleep 1
	s_clause 0x1
	global_load_b64 v[2:3], v0, s[2:3] offset:40
	global_load_b64 v[14:15], v0, s[2:3]
	v_mov_b64_e32 v[12:13], v[10:11]
	s_wait_loadcnt 0x1
	s_delay_alu instid0(VALU_DEP_1) | instskip(SKIP_1) | instid1(VALU_DEP_1)
	v_and_b32_e32 v1, v2, v12
	s_wait_loadcnt 0x0
	v_mad_nc_u64_u32 v[10:11], v1, 24, v[14:15]
	s_delay_alu instid0(VALU_DEP_3) | instskip(NEXT) | instid1(VALU_DEP_1)
	v_and_b32_e32 v1, v3, v13
	v_mad_u32 v11, v1, 24, v11
	global_load_b64 v[10:11], v[10:11], off scope:SCOPE_SYS
	s_wait_xcnt 0x0
	s_wait_loadcnt 0x0
	global_atomic_cmpswap_b64 v[10:11], v0, v[10:13], s[2:3] offset:24 th:TH_ATOMIC_RETURN scope:SCOPE_SYS
	s_wait_loadcnt 0x0
	global_inv scope:SCOPE_SYS
	v_cmp_eq_u64_e32 vcc_lo, v[10:11], v[12:13]
	s_or_b32 s5, vcc_lo, s5
	s_wait_xcnt 0x0
	s_and_not1_b32 exec_lo, exec_lo, s5
	s_cbranch_execnz .LBB2_261
; %bb.262:
	s_or_b32 exec_lo, exec_lo, s5
.LBB2_263:
	s_delay_alu instid0(SALU_CYCLE_1)
	s_or_b32 exec_lo, exec_lo, s4
.LBB2_264:
	s_delay_alu instid0(SALU_CYCLE_1)
	s_or_b32 exec_lo, exec_lo, s1
	v_readfirstlane_b32 s4, v10
	v_mov_b32_e32 v35, 0
	v_readfirstlane_b32 s5, v11
	s_mov_b32 s1, exec_lo
	s_clause 0x1
	global_load_b64 v[12:13], v35, s[2:3] offset:40
	global_load_b128 v[0:3], v35, s[2:3]
	s_wait_loadcnt 0x1
	v_and_b32_e32 v10, s4, v12
	v_and_b32_e32 v11, s5, v13
	s_delay_alu instid0(VALU_DEP_1) | instskip(SKIP_1) | instid1(VALU_DEP_1)
	v_mul_u64_e32 v[12:13], 24, v[10:11]
	s_wait_loadcnt 0x0
	v_add_nc_u64_e32 v[12:13], v[0:1], v[12:13]
	s_wait_xcnt 0x0
	s_and_saveexec_b32 s6, s0
	s_cbranch_execz .LBB2_266
; %bb.265:
	v_mov_b64_e32 v[16:17], 0x100000002
	v_dual_mov_b32 v14, s1 :: v_dual_mov_b32 v15, v35
	global_store_b128 v[12:13], v[14:17], off offset:8
.LBB2_266:
	s_wait_xcnt 0x0
	s_or_b32 exec_lo, exec_lo, s6
	v_lshlrev_b64_e32 v[10:11], 12, v[10:11]
	s_mov_b32 s12, 0
	v_and_or_b32 v8, 0xffffff1f, v8, 32
	s_mov_b32 s13, s12
	s_mov_b32 s14, s12
	;; [unrolled: 1-line block ×3, first 2 shown]
	s_delay_alu instid0(VALU_DEP_2) | instskip(SKIP_3) | instid1(VALU_DEP_4)
	v_add_nc_u64_e32 v[14:15], v[2:3], v[10:11]
	v_dual_mov_b32 v10, v4 :: v_dual_mov_b32 v11, v35
	v_mov_b64_e32 v[2:3], s[12:13]
	v_mov_b64_e32 v[4:5], s[14:15]
	v_readfirstlane_b32 s6, v14
	v_readfirstlane_b32 s7, v15
	s_clause 0x3
	global_store_b128 v34, v[8:11], s[6:7]
	global_store_b128 v34, v[2:5], s[6:7] offset:16
	global_store_b128 v34, v[2:5], s[6:7] offset:32
	;; [unrolled: 1-line block ×3, first 2 shown]
	s_wait_xcnt 0x0
	s_and_saveexec_b32 s1, s0
	s_cbranch_execz .LBB2_274
; %bb.267:
	v_dual_mov_b32 v8, 0 :: v_dual_mov_b32 v17, s5
	s_mov_b32 s6, exec_lo
	s_clause 0x1
	global_load_b64 v[18:19], v8, s[2:3] offset:32 scope:SCOPE_SYS
	global_load_b64 v[2:3], v8, s[2:3] offset:40
	s_wait_loadcnt 0x0
	v_dual_mov_b32 v16, s4 :: v_dual_bitop2_b32 v3, s5, v3 bitop3:0x40
	v_and_b32_e32 v2, s4, v2
	s_delay_alu instid0(VALU_DEP_1) | instskip(NEXT) | instid1(VALU_DEP_1)
	v_mul_u64_e32 v[2:3], 24, v[2:3]
	v_add_nc_u64_e32 v[4:5], v[0:1], v[2:3]
	global_store_b64 v[4:5], v[18:19], off
	global_wb scope:SCOPE_SYS
	s_wait_storecnt 0x0
	s_wait_xcnt 0x0
	global_atomic_cmpswap_b64 v[2:3], v8, v[16:19], s[2:3] offset:32 th:TH_ATOMIC_RETURN scope:SCOPE_SYS
	s_wait_loadcnt 0x0
	v_cmpx_ne_u64_e64 v[2:3], v[18:19]
	s_cbranch_execz .LBB2_270
; %bb.268:
	s_mov_b32 s7, 0
.LBB2_269:                              ; =>This Inner Loop Header: Depth=1
	v_dual_mov_b32 v0, s4 :: v_dual_mov_b32 v1, s5
	s_sleep 1
	global_store_b64 v[4:5], v[2:3], off
	global_wb scope:SCOPE_SYS
	s_wait_storecnt 0x0
	s_wait_xcnt 0x0
	global_atomic_cmpswap_b64 v[0:1], v8, v[0:3], s[2:3] offset:32 th:TH_ATOMIC_RETURN scope:SCOPE_SYS
	s_wait_loadcnt 0x0
	v_cmp_eq_u64_e32 vcc_lo, v[0:1], v[2:3]
	v_mov_b64_e32 v[2:3], v[0:1]
	s_or_b32 s7, vcc_lo, s7
	s_delay_alu instid0(SALU_CYCLE_1)
	s_and_not1_b32 exec_lo, exec_lo, s7
	s_cbranch_execnz .LBB2_269
.LBB2_270:
	s_or_b32 exec_lo, exec_lo, s6
	v_mov_b32_e32 v3, 0
	s_mov_b32 s7, exec_lo
	s_mov_b32 s6, exec_lo
	v_mbcnt_lo_u32_b32 v2, s7, 0
	global_load_b64 v[0:1], v3, s[2:3] offset:16
	s_wait_xcnt 0x0
	v_cmpx_eq_u32_e32 0, v2
	s_cbranch_execz .LBB2_272
; %bb.271:
	s_bcnt1_i32_b32 s7, s7
	s_delay_alu instid0(SALU_CYCLE_1)
	v_mov_b32_e32 v2, s7
	global_wb scope:SCOPE_SYS
	s_wait_loadcnt 0x0
	s_wait_storecnt 0x0
	global_atomic_add_u64 v[0:1], v[2:3], off offset:8 scope:SCOPE_SYS
.LBB2_272:
	s_wait_xcnt 0x0
	s_or_b32 exec_lo, exec_lo, s6
	s_wait_loadcnt 0x0
	global_load_b64 v[2:3], v[0:1], off offset:16
	s_wait_loadcnt 0x0
	v_cmp_eq_u64_e32 vcc_lo, 0, v[2:3]
	s_cbranch_vccnz .LBB2_274
; %bb.273:
	global_load_b32 v0, v[0:1], off offset:24
	s_wait_xcnt 0x0
	v_mov_b32_e32 v1, 0
	s_wait_loadcnt 0x0
	v_readfirstlane_b32 s6, v0
	global_wb scope:SCOPE_SYS
	s_wait_storecnt 0x0
	global_store_b64 v[2:3], v[0:1], off scope:SCOPE_SYS
	s_and_b32 m0, s6, 0xffffff
	s_sendmsg sendmsg(MSG_INTERRUPT)
.LBB2_274:
	s_wait_xcnt 0x0
	s_or_b32 exec_lo, exec_lo, s1
	v_add_nc_u64_e32 v[0:1], v[14:15], v[34:35]
	s_branch .LBB2_278
.LBB2_275:                              ;   in Loop: Header=BB2_278 Depth=1
	s_wait_xcnt 0x0
	s_or_b32 exec_lo, exec_lo, s1
	s_delay_alu instid0(VALU_DEP_1)
	v_readfirstlane_b32 s1, v2
	s_cmp_eq_u32 s1, 0
	s_cbranch_scc1 .LBB2_277
; %bb.276:                              ;   in Loop: Header=BB2_278 Depth=1
	s_sleep 1
	s_cbranch_execnz .LBB2_278
	s_branch .LBB2_280
.LBB2_277:
	s_branch .LBB2_280
.LBB2_278:                              ; =>This Inner Loop Header: Depth=1
	v_mov_b32_e32 v2, 1
	s_and_saveexec_b32 s1, s0
	s_cbranch_execz .LBB2_275
; %bb.279:                              ;   in Loop: Header=BB2_278 Depth=1
	global_load_b32 v2, v[12:13], off offset:20 scope:SCOPE_SYS
	s_wait_loadcnt 0x0
	global_inv scope:SCOPE_SYS
	v_and_b32_e32 v2, 1, v2
	s_branch .LBB2_275
.LBB2_280:
	global_load_b64 v[0:1], v[0:1], off
	s_wait_xcnt 0x0
	s_and_saveexec_b32 s6, s0
	s_cbranch_execz .LBB2_284
; %bb.281:
	v_mov_b32_e32 v10, 0
	s_clause 0x2
	global_load_b64 v[2:3], v10, s[2:3] offset:40
	global_load_b64 v[14:15], v10, s[2:3] offset:24 scope:SCOPE_SYS
	global_load_b64 v[4:5], v10, s[2:3]
	s_wait_loadcnt 0x2
	v_readfirstlane_b32 s10, v2
	v_readfirstlane_b32 s11, v3
	s_add_nc_u64 s[0:1], s[10:11], 1
	s_delay_alu instid0(SALU_CYCLE_1) | instskip(NEXT) | instid1(SALU_CYCLE_1)
	s_add_nc_u64 s[4:5], s[0:1], s[4:5]
	s_cmp_eq_u64 s[4:5], 0
	s_cselect_b32 s1, s1, s5
	s_cselect_b32 s0, s0, s4
	v_mov_b32_e32 v13, s1
	s_and_b64 s[4:5], s[0:1], s[10:11]
	v_mov_b32_e32 v12, s0
	s_mul_u64 s[4:5], s[4:5], 24
	s_wait_loadcnt 0x0
	v_add_nc_u64_e32 v[8:9], s[4:5], v[4:5]
	global_store_b64 v[8:9], v[14:15], off
	global_wb scope:SCOPE_SYS
	s_wait_storecnt 0x0
	s_wait_xcnt 0x0
	global_atomic_cmpswap_b64 v[4:5], v10, v[12:15], s[2:3] offset:24 th:TH_ATOMIC_RETURN scope:SCOPE_SYS
	s_wait_loadcnt 0x0
	v_cmp_ne_u64_e32 vcc_lo, v[4:5], v[14:15]
	s_and_b32 exec_lo, exec_lo, vcc_lo
	s_cbranch_execz .LBB2_284
; %bb.282:
	s_mov_b32 s4, 0
.LBB2_283:                              ; =>This Inner Loop Header: Depth=1
	v_dual_mov_b32 v2, s0 :: v_dual_mov_b32 v3, s1
	s_sleep 1
	global_store_b64 v[8:9], v[4:5], off
	global_wb scope:SCOPE_SYS
	s_wait_storecnt 0x0
	s_wait_xcnt 0x0
	global_atomic_cmpswap_b64 v[2:3], v10, v[2:5], s[2:3] offset:24 th:TH_ATOMIC_RETURN scope:SCOPE_SYS
	s_wait_loadcnt 0x0
	v_cmp_eq_u64_e32 vcc_lo, v[2:3], v[4:5]
	v_mov_b64_e32 v[4:5], v[2:3]
	s_or_b32 s4, vcc_lo, s4
	s_delay_alu instid0(SALU_CYCLE_1)
	s_and_not1_b32 exec_lo, exec_lo, s4
	s_cbranch_execnz .LBB2_283
.LBB2_284:
	s_or_b32 exec_lo, exec_lo, s6
	v_mov_b64_e32 v[2:3], v[36:37]
	s_mov_b32 s0, 0
.LBB2_285:                              ; =>This Inner Loop Header: Depth=1
	global_load_u8 v4, v[2:3], off
	s_wait_xcnt 0x0
	v_add_nc_u64_e32 v[2:3], 1, v[2:3]
	s_wait_loadcnt 0x0
	v_cmp_eq_u16_e32 vcc_lo, 0, v4
	s_or_b32 s0, vcc_lo, s0
	s_delay_alu instid0(SALU_CYCLE_1)
	s_and_not1_b32 exec_lo, exec_lo, s0
	s_cbranch_execnz .LBB2_285
; %bb.286:
	s_or_b32 exec_lo, exec_lo, s0
	s_delay_alu instid0(SALU_CYCLE_1)
	s_mov_b32 s0, exec_lo
	v_cmpx_ne_u64_e32 0, v[36:37]
	s_xor_b32 s6, exec_lo, s0
	s_cbranch_execz .LBB2_372
; %bb.287:
	v_dual_mov_b32 v35, 0 :: v_dual_sub_nc_u32 v28, v2, v36
	v_mov_b64_e32 v[10:11], 0x100000002
	v_and_b32_e32 v30, 2, v0
	v_and_b32_e32 v0, -3, v0
	s_delay_alu instid0(VALU_DEP_4)
	v_ashrrev_i32_e32 v29, 31, v28
	s_mov_b32 s10, 0
	s_mov_b32 s7, 0
	s_branch .LBB2_289
.LBB2_288:                              ;   in Loop: Header=BB2_289 Depth=1
	s_or_b32 exec_lo, exec_lo, s11
	v_sub_nc_u64_e32 v[28:29], v[28:29], v[32:33]
	v_add_nc_u64_e32 v[36:37], v[36:37], v[32:33]
	s_delay_alu instid0(VALU_DEP_2) | instskip(SKIP_1) | instid1(SALU_CYCLE_1)
	v_cmp_eq_u64_e32 vcc_lo, 0, v[28:29]
	s_or_b32 s7, vcc_lo, s7
	s_and_not1_b32 exec_lo, exec_lo, s7
	s_cbranch_execz .LBB2_371
.LBB2_289:                              ; =>This Loop Header: Depth=1
                                        ;     Child Loop BB2_292 Depth 2
                                        ;     Child Loop BB2_300 Depth 2
	;; [unrolled: 1-line block ×11, first 2 shown]
	s_delay_alu instid0(VALU_DEP_1) | instskip(NEXT) | instid1(VALU_DEP_3)
	v_min_u64 v[32:33], v[28:29], 56
	v_add_nc_u64_e32 v[8:9], 8, v[36:37]
	s_mov_b32 s0, exec_lo
	v_cmpx_gt_u64_e32 8, v[28:29]
	s_xor_b32 s4, exec_lo, s0
	s_cbranch_execz .LBB2_295
; %bb.290:                              ;   in Loop: Header=BB2_289 Depth=1
	v_mov_b64_e32 v[2:3], 0
	s_mov_b32 s5, exec_lo
	v_cmpx_ne_u64_e32 0, v[28:29]
	s_cbranch_execz .LBB2_294
; %bb.291:                              ;   in Loop: Header=BB2_289 Depth=1
	v_mov_b64_e32 v[2:3], 0
	v_mov_b64_e32 v[8:9], v[36:37]
	v_lshlrev_b32_e32 v4, 3, v32
	s_mov_b64 s[0:1], 0
	s_mov_b32 s11, 0
.LBB2_292:                              ;   Parent Loop BB2_289 Depth=1
                                        ; =>  This Inner Loop Header: Depth=2
	global_load_u8 v5, v[8:9], off
	v_mov_b32_e32 v13, s10
	s_wait_xcnt 0x0
	v_add_nc_u64_e32 v[8:9], 1, v[8:9]
	s_wait_loadcnt 0x0
	v_and_b32_e32 v12, 0xffff, v5
	s_delay_alu instid0(VALU_DEP_1) | instskip(SKIP_1) | instid1(SALU_CYCLE_1)
	v_lshlrev_b64_e32 v[12:13], s0, v[12:13]
	s_add_nc_u64 s[0:1], s[0:1], 8
	v_cmp_eq_u32_e32 vcc_lo, s0, v4
	s_delay_alu instid0(VALU_DEP_2) | instskip(NEXT) | instid1(VALU_DEP_3)
	v_or_b32_e32 v3, v13, v3
	v_or_b32_e32 v2, v12, v2
	s_or_b32 s11, vcc_lo, s11
	s_delay_alu instid0(SALU_CYCLE_1)
	s_and_not1_b32 exec_lo, exec_lo, s11
	s_cbranch_execnz .LBB2_292
; %bb.293:                              ;   in Loop: Header=BB2_289 Depth=1
	s_or_b32 exec_lo, exec_lo, s11
.LBB2_294:                              ;   in Loop: Header=BB2_289 Depth=1
	s_delay_alu instid0(SALU_CYCLE_1)
	s_or_b32 exec_lo, exec_lo, s5
	v_mov_b64_e32 v[8:9], v[36:37]
.LBB2_295:                              ;   in Loop: Header=BB2_289 Depth=1
	s_or_saveexec_b32 s0, s4
	v_mov_b32_e32 v14, 0
	s_xor_b32 exec_lo, exec_lo, s0
	s_cbranch_execz .LBB2_297
; %bb.296:                              ;   in Loop: Header=BB2_289 Depth=1
	global_load_b64 v[2:3], v[36:37], off
	v_add_nc_u32_e32 v14, -8, v32
.LBB2_297:                              ;   in Loop: Header=BB2_289 Depth=1
	s_wait_xcnt 0x0
	s_or_b32 exec_lo, exec_lo, s0
	v_add_nc_u64_e32 v[4:5], 8, v[8:9]
                                        ; implicit-def: $vgpr12_vgpr13
	s_mov_b32 s0, exec_lo
	v_cmpx_gt_u32_e32 8, v14
	s_xor_b32 s11, exec_lo, s0
	s_cbranch_execz .LBB2_303
; %bb.298:                              ;   in Loop: Header=BB2_289 Depth=1
	v_mov_b64_e32 v[12:13], 0
	s_mov_b32 s12, exec_lo
	v_cmpx_ne_u32_e32 0, v14
	s_cbranch_execz .LBB2_302
; %bb.299:                              ;   in Loop: Header=BB2_289 Depth=1
	v_mov_b64_e32 v[12:13], 0
	s_mov_b64 s[0:1], 0
	s_mov_b32 s13, 0
	s_mov_b64 s[4:5], 0
.LBB2_300:                              ;   Parent Loop BB2_289 Depth=1
                                        ; =>  This Inner Loop Header: Depth=2
	s_delay_alu instid0(SALU_CYCLE_1) | instskip(SKIP_1) | instid1(SALU_CYCLE_1)
	v_add_nc_u64_e32 v[4:5], s[4:5], v[8:9]
	s_add_nc_u64 s[4:5], s[4:5], 1
	v_cmp_eq_u32_e32 vcc_lo, s4, v14
	global_load_u8 v4, v[4:5], off
	s_wait_xcnt 0x0
	v_mov_b32_e32 v5, s10
	s_or_b32 s13, vcc_lo, s13
	s_wait_loadcnt 0x0
	v_and_b32_e32 v4, 0xffff, v4
	s_delay_alu instid0(VALU_DEP_1) | instskip(SKIP_1) | instid1(VALU_DEP_1)
	v_lshlrev_b64_e32 v[4:5], s0, v[4:5]
	s_add_nc_u64 s[0:1], s[0:1], 8
	v_or_b32_e32 v13, v5, v13
	s_delay_alu instid0(VALU_DEP_2)
	v_or_b32_e32 v12, v4, v12
	s_and_not1_b32 exec_lo, exec_lo, s13
	s_cbranch_execnz .LBB2_300
; %bb.301:                              ;   in Loop: Header=BB2_289 Depth=1
	s_or_b32 exec_lo, exec_lo, s13
.LBB2_302:                              ;   in Loop: Header=BB2_289 Depth=1
	s_delay_alu instid0(SALU_CYCLE_1)
	s_or_b32 exec_lo, exec_lo, s12
	v_mov_b64_e32 v[4:5], v[8:9]
                                        ; implicit-def: $vgpr14
.LBB2_303:                              ;   in Loop: Header=BB2_289 Depth=1
	s_or_saveexec_b32 s0, s11
	v_mov_b32_e32 v16, 0
	s_xor_b32 exec_lo, exec_lo, s0
	s_cbranch_execz .LBB2_305
; %bb.304:                              ;   in Loop: Header=BB2_289 Depth=1
	global_load_b64 v[12:13], v[8:9], off
	v_add_nc_u32_e32 v16, -8, v14
.LBB2_305:                              ;   in Loop: Header=BB2_289 Depth=1
	s_wait_xcnt 0x0
	s_or_b32 exec_lo, exec_lo, s0
	v_add_nc_u64_e32 v[8:9], 8, v[4:5]
	s_mov_b32 s0, exec_lo
	v_cmpx_gt_u32_e32 8, v16
	s_xor_b32 s11, exec_lo, s0
	s_cbranch_execz .LBB2_311
; %bb.306:                              ;   in Loop: Header=BB2_289 Depth=1
	v_mov_b64_e32 v[14:15], 0
	s_mov_b32 s12, exec_lo
	v_cmpx_ne_u32_e32 0, v16
	s_cbranch_execz .LBB2_310
; %bb.307:                              ;   in Loop: Header=BB2_289 Depth=1
	v_mov_b64_e32 v[14:15], 0
	s_mov_b64 s[0:1], 0
	s_mov_b32 s13, 0
	s_mov_b64 s[4:5], 0
.LBB2_308:                              ;   Parent Loop BB2_289 Depth=1
                                        ; =>  This Inner Loop Header: Depth=2
	s_delay_alu instid0(SALU_CYCLE_1) | instskip(SKIP_1) | instid1(SALU_CYCLE_1)
	v_add_nc_u64_e32 v[8:9], s[4:5], v[4:5]
	s_add_nc_u64 s[4:5], s[4:5], 1
	v_cmp_eq_u32_e32 vcc_lo, s4, v16
	global_load_u8 v8, v[8:9], off
	s_wait_xcnt 0x0
	v_mov_b32_e32 v9, s10
	s_or_b32 s13, vcc_lo, s13
	s_wait_loadcnt 0x0
	v_and_b32_e32 v8, 0xffff, v8
	s_delay_alu instid0(VALU_DEP_1) | instskip(SKIP_1) | instid1(VALU_DEP_1)
	v_lshlrev_b64_e32 v[8:9], s0, v[8:9]
	s_add_nc_u64 s[0:1], s[0:1], 8
	v_or_b32_e32 v15, v9, v15
	s_delay_alu instid0(VALU_DEP_2)
	v_or_b32_e32 v14, v8, v14
	s_and_not1_b32 exec_lo, exec_lo, s13
	s_cbranch_execnz .LBB2_308
; %bb.309:                              ;   in Loop: Header=BB2_289 Depth=1
	s_or_b32 exec_lo, exec_lo, s13
.LBB2_310:                              ;   in Loop: Header=BB2_289 Depth=1
	s_delay_alu instid0(SALU_CYCLE_1)
	s_or_b32 exec_lo, exec_lo, s12
	v_mov_b64_e32 v[8:9], v[4:5]
                                        ; implicit-def: $vgpr16
.LBB2_311:                              ;   in Loop: Header=BB2_289 Depth=1
	s_or_saveexec_b32 s0, s11
	v_mov_b32_e32 v18, 0
	s_xor_b32 exec_lo, exec_lo, s0
	s_cbranch_execz .LBB2_313
; %bb.312:                              ;   in Loop: Header=BB2_289 Depth=1
	global_load_b64 v[14:15], v[4:5], off
	v_add_nc_u32_e32 v18, -8, v16
.LBB2_313:                              ;   in Loop: Header=BB2_289 Depth=1
	s_wait_xcnt 0x0
	s_or_b32 exec_lo, exec_lo, s0
	v_add_nc_u64_e32 v[4:5], 8, v[8:9]
                                        ; implicit-def: $vgpr16_vgpr17
	s_mov_b32 s0, exec_lo
	v_cmpx_gt_u32_e32 8, v18
	s_xor_b32 s11, exec_lo, s0
	s_cbranch_execz .LBB2_319
; %bb.314:                              ;   in Loop: Header=BB2_289 Depth=1
	v_mov_b64_e32 v[16:17], 0
	s_mov_b32 s12, exec_lo
	v_cmpx_ne_u32_e32 0, v18
	s_cbranch_execz .LBB2_318
; %bb.315:                              ;   in Loop: Header=BB2_289 Depth=1
	v_mov_b64_e32 v[16:17], 0
	s_mov_b64 s[0:1], 0
	s_mov_b32 s13, 0
	s_mov_b64 s[4:5], 0
.LBB2_316:                              ;   Parent Loop BB2_289 Depth=1
                                        ; =>  This Inner Loop Header: Depth=2
	s_delay_alu instid0(SALU_CYCLE_1) | instskip(SKIP_1) | instid1(SALU_CYCLE_1)
	v_add_nc_u64_e32 v[4:5], s[4:5], v[8:9]
	s_add_nc_u64 s[4:5], s[4:5], 1
	v_cmp_eq_u32_e32 vcc_lo, s4, v18
	global_load_u8 v4, v[4:5], off
	s_wait_xcnt 0x0
	v_mov_b32_e32 v5, s10
	s_or_b32 s13, vcc_lo, s13
	s_wait_loadcnt 0x0
	v_and_b32_e32 v4, 0xffff, v4
	s_delay_alu instid0(VALU_DEP_1) | instskip(SKIP_1) | instid1(VALU_DEP_1)
	v_lshlrev_b64_e32 v[4:5], s0, v[4:5]
	s_add_nc_u64 s[0:1], s[0:1], 8
	v_or_b32_e32 v17, v5, v17
	s_delay_alu instid0(VALU_DEP_2)
	v_or_b32_e32 v16, v4, v16
	s_and_not1_b32 exec_lo, exec_lo, s13
	s_cbranch_execnz .LBB2_316
; %bb.317:                              ;   in Loop: Header=BB2_289 Depth=1
	s_or_b32 exec_lo, exec_lo, s13
.LBB2_318:                              ;   in Loop: Header=BB2_289 Depth=1
	s_delay_alu instid0(SALU_CYCLE_1)
	s_or_b32 exec_lo, exec_lo, s12
	v_mov_b64_e32 v[4:5], v[8:9]
                                        ; implicit-def: $vgpr18
.LBB2_319:                              ;   in Loop: Header=BB2_289 Depth=1
	s_or_saveexec_b32 s0, s11
	v_mov_b32_e32 v20, 0
	s_xor_b32 exec_lo, exec_lo, s0
	s_cbranch_execz .LBB2_321
; %bb.320:                              ;   in Loop: Header=BB2_289 Depth=1
	global_load_b64 v[16:17], v[8:9], off
	v_add_nc_u32_e32 v20, -8, v18
.LBB2_321:                              ;   in Loop: Header=BB2_289 Depth=1
	s_wait_xcnt 0x0
	s_or_b32 exec_lo, exec_lo, s0
	v_add_nc_u64_e32 v[8:9], 8, v[4:5]
	s_mov_b32 s0, exec_lo
	v_cmpx_gt_u32_e32 8, v20
	s_xor_b32 s11, exec_lo, s0
	s_cbranch_execz .LBB2_327
; %bb.322:                              ;   in Loop: Header=BB2_289 Depth=1
	v_mov_b64_e32 v[18:19], 0
	s_mov_b32 s12, exec_lo
	v_cmpx_ne_u32_e32 0, v20
	s_cbranch_execz .LBB2_326
; %bb.323:                              ;   in Loop: Header=BB2_289 Depth=1
	v_mov_b64_e32 v[18:19], 0
	s_mov_b64 s[0:1], 0
	s_mov_b32 s13, 0
	s_mov_b64 s[4:5], 0
.LBB2_324:                              ;   Parent Loop BB2_289 Depth=1
                                        ; =>  This Inner Loop Header: Depth=2
	s_delay_alu instid0(SALU_CYCLE_1) | instskip(SKIP_1) | instid1(SALU_CYCLE_1)
	v_add_nc_u64_e32 v[8:9], s[4:5], v[4:5]
	s_add_nc_u64 s[4:5], s[4:5], 1
	v_cmp_eq_u32_e32 vcc_lo, s4, v20
	global_load_u8 v8, v[8:9], off
	s_wait_xcnt 0x0
	v_mov_b32_e32 v9, s10
	s_or_b32 s13, vcc_lo, s13
	s_wait_loadcnt 0x0
	v_and_b32_e32 v8, 0xffff, v8
	s_delay_alu instid0(VALU_DEP_1) | instskip(SKIP_1) | instid1(VALU_DEP_1)
	v_lshlrev_b64_e32 v[8:9], s0, v[8:9]
	s_add_nc_u64 s[0:1], s[0:1], 8
	v_or_b32_e32 v19, v9, v19
	s_delay_alu instid0(VALU_DEP_2)
	v_or_b32_e32 v18, v8, v18
	s_and_not1_b32 exec_lo, exec_lo, s13
	s_cbranch_execnz .LBB2_324
; %bb.325:                              ;   in Loop: Header=BB2_289 Depth=1
	s_or_b32 exec_lo, exec_lo, s13
.LBB2_326:                              ;   in Loop: Header=BB2_289 Depth=1
	s_delay_alu instid0(SALU_CYCLE_1)
	s_or_b32 exec_lo, exec_lo, s12
	v_mov_b64_e32 v[8:9], v[4:5]
                                        ; implicit-def: $vgpr20
.LBB2_327:                              ;   in Loop: Header=BB2_289 Depth=1
	s_or_saveexec_b32 s0, s11
	v_mov_b32_e32 v22, 0
	s_xor_b32 exec_lo, exec_lo, s0
	s_cbranch_execz .LBB2_329
; %bb.328:                              ;   in Loop: Header=BB2_289 Depth=1
	global_load_b64 v[18:19], v[4:5], off
	v_add_nc_u32_e32 v22, -8, v20
.LBB2_329:                              ;   in Loop: Header=BB2_289 Depth=1
	s_wait_xcnt 0x0
	s_or_b32 exec_lo, exec_lo, s0
	v_add_nc_u64_e32 v[4:5], 8, v[8:9]
                                        ; implicit-def: $vgpr20_vgpr21
	s_mov_b32 s0, exec_lo
	v_cmpx_gt_u32_e32 8, v22
	s_xor_b32 s11, exec_lo, s0
	s_cbranch_execz .LBB2_335
; %bb.330:                              ;   in Loop: Header=BB2_289 Depth=1
	v_mov_b64_e32 v[20:21], 0
	s_mov_b32 s12, exec_lo
	v_cmpx_ne_u32_e32 0, v22
	s_cbranch_execz .LBB2_334
; %bb.331:                              ;   in Loop: Header=BB2_289 Depth=1
	v_mov_b64_e32 v[20:21], 0
	s_mov_b64 s[0:1], 0
	s_mov_b32 s13, 0
	s_mov_b64 s[4:5], 0
.LBB2_332:                              ;   Parent Loop BB2_289 Depth=1
                                        ; =>  This Inner Loop Header: Depth=2
	s_delay_alu instid0(SALU_CYCLE_1) | instskip(SKIP_1) | instid1(SALU_CYCLE_1)
	v_add_nc_u64_e32 v[4:5], s[4:5], v[8:9]
	s_add_nc_u64 s[4:5], s[4:5], 1
	v_cmp_eq_u32_e32 vcc_lo, s4, v22
	global_load_u8 v4, v[4:5], off
	s_wait_xcnt 0x0
	v_mov_b32_e32 v5, s10
	s_or_b32 s13, vcc_lo, s13
	s_wait_loadcnt 0x0
	v_and_b32_e32 v4, 0xffff, v4
	s_delay_alu instid0(VALU_DEP_1) | instskip(SKIP_1) | instid1(VALU_DEP_1)
	v_lshlrev_b64_e32 v[4:5], s0, v[4:5]
	s_add_nc_u64 s[0:1], s[0:1], 8
	v_or_b32_e32 v21, v5, v21
	s_delay_alu instid0(VALU_DEP_2)
	v_or_b32_e32 v20, v4, v20
	s_and_not1_b32 exec_lo, exec_lo, s13
	s_cbranch_execnz .LBB2_332
; %bb.333:                              ;   in Loop: Header=BB2_289 Depth=1
	s_or_b32 exec_lo, exec_lo, s13
.LBB2_334:                              ;   in Loop: Header=BB2_289 Depth=1
	s_delay_alu instid0(SALU_CYCLE_1)
	s_or_b32 exec_lo, exec_lo, s12
	v_mov_b64_e32 v[4:5], v[8:9]
                                        ; implicit-def: $vgpr22
.LBB2_335:                              ;   in Loop: Header=BB2_289 Depth=1
	s_or_saveexec_b32 s0, s11
	v_mov_b32_e32 v24, 0
	s_xor_b32 exec_lo, exec_lo, s0
	s_cbranch_execz .LBB2_337
; %bb.336:                              ;   in Loop: Header=BB2_289 Depth=1
	global_load_b64 v[20:21], v[8:9], off
	v_add_nc_u32_e32 v24, -8, v22
.LBB2_337:                              ;   in Loop: Header=BB2_289 Depth=1
	s_wait_xcnt 0x0
	s_or_b32 exec_lo, exec_lo, s0
	s_delay_alu instid0(SALU_CYCLE_1) | instskip(NEXT) | instid1(VALU_DEP_1)
	s_mov_b32 s0, exec_lo
	v_cmpx_gt_u32_e32 8, v24
	s_xor_b32 s4, exec_lo, s0
	s_cbranch_execz .LBB2_343
; %bb.338:                              ;   in Loop: Header=BB2_289 Depth=1
	v_mov_b64_e32 v[22:23], 0
	s_mov_b32 s5, exec_lo
	v_cmpx_ne_u32_e32 0, v24
	s_cbranch_execz .LBB2_342
; %bb.339:                              ;   in Loop: Header=BB2_289 Depth=1
	v_mov_b64_e32 v[22:23], 0
	s_mov_b64 s[0:1], 0
	s_mov_b32 s11, 0
.LBB2_340:                              ;   Parent Loop BB2_289 Depth=1
                                        ; =>  This Inner Loop Header: Depth=2
	global_load_u8 v8, v[4:5], off
	v_dual_mov_b32 v9, s10 :: v_dual_add_nc_u32 v24, -1, v24
	s_wait_xcnt 0x0
	v_add_nc_u64_e32 v[4:5], 1, v[4:5]
	s_delay_alu instid0(VALU_DEP_2) | instskip(SKIP_3) | instid1(VALU_DEP_1)
	v_cmp_eq_u32_e32 vcc_lo, 0, v24
	s_or_b32 s11, vcc_lo, s11
	s_wait_loadcnt 0x0
	v_and_b32_e32 v8, 0xffff, v8
	v_lshlrev_b64_e32 v[8:9], s0, v[8:9]
	s_add_nc_u64 s[0:1], s[0:1], 8
	s_delay_alu instid0(VALU_DEP_1) | instskip(NEXT) | instid1(VALU_DEP_2)
	v_or_b32_e32 v23, v9, v23
	v_or_b32_e32 v22, v8, v22
	s_and_not1_b32 exec_lo, exec_lo, s11
	s_cbranch_execnz .LBB2_340
; %bb.341:                              ;   in Loop: Header=BB2_289 Depth=1
	s_or_b32 exec_lo, exec_lo, s11
.LBB2_342:                              ;   in Loop: Header=BB2_289 Depth=1
	s_delay_alu instid0(SALU_CYCLE_1)
	s_or_b32 exec_lo, exec_lo, s5
                                        ; implicit-def: $vgpr4_vgpr5
.LBB2_343:                              ;   in Loop: Header=BB2_289 Depth=1
	s_and_not1_saveexec_b32 s0, s4
	s_cbranch_execz .LBB2_345
; %bb.344:                              ;   in Loop: Header=BB2_289 Depth=1
	global_load_b64 v[22:23], v[4:5], off
.LBB2_345:                              ;   in Loop: Header=BB2_289 Depth=1
	s_wait_xcnt 0x0
	s_or_b32 exec_lo, exec_lo, s0
	v_readfirstlane_b32 s0, v54
	v_mov_b64_e32 v[4:5], 0
	s_delay_alu instid0(VALU_DEP_2)
	v_cmp_eq_u32_e64 s0, s0, v54
	s_and_saveexec_b32 s1, s0
	s_cbranch_execz .LBB2_351
; %bb.346:                              ;   in Loop: Header=BB2_289 Depth=1
	global_load_b64 v[26:27], v35, s[2:3] offset:24 scope:SCOPE_SYS
	s_wait_loadcnt 0x0
	global_inv scope:SCOPE_SYS
	s_clause 0x1
	global_load_b64 v[4:5], v35, s[2:3] offset:40
	global_load_b64 v[8:9], v35, s[2:3]
	s_mov_b32 s4, exec_lo
	s_wait_loadcnt 0x1
	v_and_b32_e32 v4, v4, v26
	v_and_b32_e32 v5, v5, v27
	s_delay_alu instid0(VALU_DEP_1) | instskip(SKIP_1) | instid1(VALU_DEP_1)
	v_mul_u64_e32 v[4:5], 24, v[4:5]
	s_wait_loadcnt 0x0
	v_add_nc_u64_e32 v[4:5], v[8:9], v[4:5]
	global_load_b64 v[24:25], v[4:5], off scope:SCOPE_SYS
	s_wait_xcnt 0x0
	s_wait_loadcnt 0x0
	global_atomic_cmpswap_b64 v[4:5], v35, v[24:27], s[2:3] offset:24 th:TH_ATOMIC_RETURN scope:SCOPE_SYS
	s_wait_loadcnt 0x0
	global_inv scope:SCOPE_SYS
	s_wait_xcnt 0x0
	v_cmpx_ne_u64_e64 v[4:5], v[26:27]
	s_cbranch_execz .LBB2_350
; %bb.347:                              ;   in Loop: Header=BB2_289 Depth=1
	s_mov_b32 s5, 0
.LBB2_348:                              ;   Parent Loop BB2_289 Depth=1
                                        ; =>  This Inner Loop Header: Depth=2
	s_sleep 1
	s_clause 0x1
	global_load_b64 v[8:9], v35, s[2:3] offset:40
	global_load_b64 v[24:25], v35, s[2:3]
	v_mov_b64_e32 v[26:27], v[4:5]
	s_wait_loadcnt 0x1
	s_delay_alu instid0(VALU_DEP_1) | instskip(NEXT) | instid1(VALU_DEP_2)
	v_and_b32_e32 v4, v8, v26
	v_and_b32_e32 v8, v9, v27
	s_wait_loadcnt 0x0
	s_delay_alu instid0(VALU_DEP_2) | instskip(NEXT) | instid1(VALU_DEP_1)
	v_mad_nc_u64_u32 v[4:5], v4, 24, v[24:25]
	v_mad_u32 v5, v8, 24, v5
	global_load_b64 v[24:25], v[4:5], off scope:SCOPE_SYS
	s_wait_xcnt 0x0
	s_wait_loadcnt 0x0
	global_atomic_cmpswap_b64 v[4:5], v35, v[24:27], s[2:3] offset:24 th:TH_ATOMIC_RETURN scope:SCOPE_SYS
	s_wait_loadcnt 0x0
	global_inv scope:SCOPE_SYS
	v_cmp_eq_u64_e32 vcc_lo, v[4:5], v[26:27]
	s_or_b32 s5, vcc_lo, s5
	s_wait_xcnt 0x0
	s_and_not1_b32 exec_lo, exec_lo, s5
	s_cbranch_execnz .LBB2_348
; %bb.349:                              ;   in Loop: Header=BB2_289 Depth=1
	s_or_b32 exec_lo, exec_lo, s5
.LBB2_350:                              ;   in Loop: Header=BB2_289 Depth=1
	s_delay_alu instid0(SALU_CYCLE_1)
	s_or_b32 exec_lo, exec_lo, s4
.LBB2_351:                              ;   in Loop: Header=BB2_289 Depth=1
	s_delay_alu instid0(SALU_CYCLE_1)
	s_or_b32 exec_lo, exec_lo, s1
	s_clause 0x1
	global_load_b64 v[8:9], v35, s[2:3] offset:40
	global_load_b128 v[24:27], v35, s[2:3]
	v_readfirstlane_b32 s4, v4
	v_readfirstlane_b32 s5, v5
	s_mov_b32 s1, exec_lo
	s_wait_loadcnt 0x1
	v_and_b32_e32 v38, s4, v8
	v_and_b32_e32 v39, s5, v9
	s_delay_alu instid0(VALU_DEP_1) | instskip(SKIP_1) | instid1(VALU_DEP_1)
	v_mul_u64_e32 v[4:5], 24, v[38:39]
	s_wait_loadcnt 0x0
	v_add_nc_u64_e32 v[4:5], v[24:25], v[4:5]
	s_wait_xcnt 0x0
	s_and_saveexec_b32 s11, s0
	s_cbranch_execz .LBB2_353
; %bb.352:                              ;   in Loop: Header=BB2_289 Depth=1
	v_dual_mov_b32 v8, s1 :: v_dual_mov_b32 v9, v35
	global_store_b128 v[4:5], v[8:11], off offset:8
.LBB2_353:                              ;   in Loop: Header=BB2_289 Depth=1
	s_wait_xcnt 0x0
	s_or_b32 exec_lo, exec_lo, s11
	v_cmp_gt_u64_e32 vcc_lo, 57, v[28:29]
	v_lshlrev_b64_e32 v[8:9], 12, v[38:39]
	v_and_b32_e32 v0, 0xffffff1f, v0
	v_lshl_add_u32 v38, v32, 2, 28
	v_cndmask_b32_e32 v31, 0, v30, vcc_lo
	s_delay_alu instid0(VALU_DEP_4) | instskip(NEXT) | instid1(VALU_DEP_2)
	v_add_nc_u64_e32 v[8:9], v[26:27], v[8:9]
	v_or_b32_e32 v0, v0, v31
	s_delay_alu instid0(VALU_DEP_2) | instskip(NEXT) | instid1(VALU_DEP_3)
	v_readfirstlane_b32 s12, v8
	v_readfirstlane_b32 s13, v9
	s_delay_alu instid0(VALU_DEP_3)
	v_and_or_b32 v0, 0x1e0, v38, v0
	s_clause 0x3
	global_store_b128 v34, v[0:3], s[12:13]
	global_store_b128 v34, v[12:15], s[12:13] offset:16
	global_store_b128 v34, v[16:19], s[12:13] offset:32
	;; [unrolled: 1-line block ×3, first 2 shown]
	s_wait_xcnt 0x0
	s_and_saveexec_b32 s1, s0
	s_cbranch_execz .LBB2_361
; %bb.354:                              ;   in Loop: Header=BB2_289 Depth=1
	s_clause 0x1
	global_load_b64 v[16:17], v35, s[2:3] offset:32 scope:SCOPE_SYS
	global_load_b64 v[0:1], v35, s[2:3] offset:40
	s_mov_b32 s11, exec_lo
	v_dual_mov_b32 v14, s4 :: v_dual_mov_b32 v15, s5
	s_wait_loadcnt 0x0
	v_and_b32_e32 v1, s5, v1
	v_and_b32_e32 v0, s4, v0
	s_delay_alu instid0(VALU_DEP_1) | instskip(NEXT) | instid1(VALU_DEP_1)
	v_mul_u64_e32 v[0:1], 24, v[0:1]
	v_add_nc_u64_e32 v[12:13], v[24:25], v[0:1]
	global_store_b64 v[12:13], v[16:17], off
	global_wb scope:SCOPE_SYS
	s_wait_storecnt 0x0
	s_wait_xcnt 0x0
	global_atomic_cmpswap_b64 v[2:3], v35, v[14:17], s[2:3] offset:32 th:TH_ATOMIC_RETURN scope:SCOPE_SYS
	s_wait_loadcnt 0x0
	v_cmpx_ne_u64_e64 v[2:3], v[16:17]
	s_cbranch_execz .LBB2_357
; %bb.355:                              ;   in Loop: Header=BB2_289 Depth=1
	s_mov_b32 s12, 0
.LBB2_356:                              ;   Parent Loop BB2_289 Depth=1
                                        ; =>  This Inner Loop Header: Depth=2
	v_dual_mov_b32 v0, s4 :: v_dual_mov_b32 v1, s5
	s_sleep 1
	global_store_b64 v[12:13], v[2:3], off
	global_wb scope:SCOPE_SYS
	s_wait_storecnt 0x0
	s_wait_xcnt 0x0
	global_atomic_cmpswap_b64 v[0:1], v35, v[0:3], s[2:3] offset:32 th:TH_ATOMIC_RETURN scope:SCOPE_SYS
	s_wait_loadcnt 0x0
	v_cmp_eq_u64_e32 vcc_lo, v[0:1], v[2:3]
	v_mov_b64_e32 v[2:3], v[0:1]
	s_or_b32 s12, vcc_lo, s12
	s_delay_alu instid0(SALU_CYCLE_1)
	s_and_not1_b32 exec_lo, exec_lo, s12
	s_cbranch_execnz .LBB2_356
.LBB2_357:                              ;   in Loop: Header=BB2_289 Depth=1
	s_or_b32 exec_lo, exec_lo, s11
	global_load_b64 v[0:1], v35, s[2:3] offset:16
	s_mov_b32 s12, exec_lo
	s_mov_b32 s11, exec_lo
	v_mbcnt_lo_u32_b32 v2, s12, 0
	s_wait_xcnt 0x0
	s_delay_alu instid0(VALU_DEP_1)
	v_cmpx_eq_u32_e32 0, v2
	s_cbranch_execz .LBB2_359
; %bb.358:                              ;   in Loop: Header=BB2_289 Depth=1
	s_bcnt1_i32_b32 s12, s12
	s_delay_alu instid0(SALU_CYCLE_1)
	v_dual_mov_b32 v3, v35 :: v_dual_mov_b32 v2, s12
	global_wb scope:SCOPE_SYS
	s_wait_loadcnt 0x0
	s_wait_storecnt 0x0
	global_atomic_add_u64 v[0:1], v[2:3], off offset:8 scope:SCOPE_SYS
.LBB2_359:                              ;   in Loop: Header=BB2_289 Depth=1
	s_wait_xcnt 0x0
	s_or_b32 exec_lo, exec_lo, s11
	s_wait_loadcnt 0x0
	global_load_b64 v[2:3], v[0:1], off offset:16
	s_wait_loadcnt 0x0
	v_cmp_eq_u64_e32 vcc_lo, 0, v[2:3]
	s_cbranch_vccnz .LBB2_361
; %bb.360:                              ;   in Loop: Header=BB2_289 Depth=1
	global_load_b32 v0, v[0:1], off offset:24
	s_wait_xcnt 0x0
	v_mov_b32_e32 v1, v35
	s_wait_loadcnt 0x0
	v_readfirstlane_b32 s11, v0
	global_wb scope:SCOPE_SYS
	s_wait_storecnt 0x0
	global_store_b64 v[2:3], v[0:1], off scope:SCOPE_SYS
	s_and_b32 m0, s11, 0xffffff
	s_sendmsg sendmsg(MSG_INTERRUPT)
.LBB2_361:                              ;   in Loop: Header=BB2_289 Depth=1
	s_wait_xcnt 0x0
	s_or_b32 exec_lo, exec_lo, s1
	v_add_nc_u64_e32 v[0:1], v[8:9], v[34:35]
	s_branch .LBB2_365
.LBB2_362:                              ;   in Loop: Header=BB2_365 Depth=2
	s_wait_xcnt 0x0
	s_or_b32 exec_lo, exec_lo, s1
	s_delay_alu instid0(VALU_DEP_1)
	v_readfirstlane_b32 s1, v2
	s_cmp_eq_u32 s1, 0
	s_cbranch_scc1 .LBB2_364
; %bb.363:                              ;   in Loop: Header=BB2_365 Depth=2
	s_sleep 1
	s_cbranch_execnz .LBB2_365
	s_branch .LBB2_367
.LBB2_364:                              ;   in Loop: Header=BB2_289 Depth=1
	s_branch .LBB2_367
.LBB2_365:                              ;   Parent Loop BB2_289 Depth=1
                                        ; =>  This Inner Loop Header: Depth=2
	v_mov_b32_e32 v2, 1
	s_and_saveexec_b32 s1, s0
	s_cbranch_execz .LBB2_362
; %bb.366:                              ;   in Loop: Header=BB2_365 Depth=2
	global_load_b32 v2, v[4:5], off offset:20 scope:SCOPE_SYS
	s_wait_loadcnt 0x0
	global_inv scope:SCOPE_SYS
	v_and_b32_e32 v2, 1, v2
	s_branch .LBB2_362
.LBB2_367:                              ;   in Loop: Header=BB2_289 Depth=1
	global_load_b64 v[0:1], v[0:1], off
	s_wait_xcnt 0x0
	s_and_saveexec_b32 s11, s0
	s_cbranch_execz .LBB2_288
; %bb.368:                              ;   in Loop: Header=BB2_289 Depth=1
	s_clause 0x2
	global_load_b64 v[2:3], v35, s[2:3] offset:40
	global_load_b64 v[14:15], v35, s[2:3] offset:24 scope:SCOPE_SYS
	global_load_b64 v[4:5], v35, s[2:3]
	s_wait_loadcnt 0x2
	v_readfirstlane_b32 s12, v2
	v_readfirstlane_b32 s13, v3
	s_add_nc_u64 s[0:1], s[12:13], 1
	s_delay_alu instid0(SALU_CYCLE_1) | instskip(NEXT) | instid1(SALU_CYCLE_1)
	s_add_nc_u64 s[4:5], s[0:1], s[4:5]
	s_cmp_eq_u64 s[4:5], 0
	s_cselect_b32 s1, s1, s5
	s_cselect_b32 s0, s0, s4
	s_delay_alu instid0(SALU_CYCLE_1) | instskip(SKIP_1) | instid1(SALU_CYCLE_1)
	v_dual_mov_b32 v13, s1 :: v_dual_mov_b32 v12, s0
	s_and_b64 s[4:5], s[0:1], s[12:13]
	s_mul_u64 s[4:5], s[4:5], 24
	s_wait_loadcnt 0x0
	v_add_nc_u64_e32 v[8:9], s[4:5], v[4:5]
	global_store_b64 v[8:9], v[14:15], off
	global_wb scope:SCOPE_SYS
	s_wait_storecnt 0x0
	s_wait_xcnt 0x0
	global_atomic_cmpswap_b64 v[4:5], v35, v[12:15], s[2:3] offset:24 th:TH_ATOMIC_RETURN scope:SCOPE_SYS
	s_wait_loadcnt 0x0
	v_cmp_ne_u64_e32 vcc_lo, v[4:5], v[14:15]
	s_and_b32 exec_lo, exec_lo, vcc_lo
	s_cbranch_execz .LBB2_288
; %bb.369:                              ;   in Loop: Header=BB2_289 Depth=1
	s_mov_b32 s4, 0
.LBB2_370:                              ;   Parent Loop BB2_289 Depth=1
                                        ; =>  This Inner Loop Header: Depth=2
	v_dual_mov_b32 v2, s0 :: v_dual_mov_b32 v3, s1
	s_sleep 1
	global_store_b64 v[8:9], v[4:5], off
	global_wb scope:SCOPE_SYS
	s_wait_storecnt 0x0
	s_wait_xcnt 0x0
	global_atomic_cmpswap_b64 v[2:3], v35, v[2:5], s[2:3] offset:24 th:TH_ATOMIC_RETURN scope:SCOPE_SYS
	s_wait_loadcnt 0x0
	v_cmp_eq_u64_e32 vcc_lo, v[2:3], v[4:5]
	v_mov_b64_e32 v[4:5], v[2:3]
	s_or_b32 s4, vcc_lo, s4
	s_delay_alu instid0(SALU_CYCLE_1)
	s_and_not1_b32 exec_lo, exec_lo, s4
	s_cbranch_execnz .LBB2_370
	s_branch .LBB2_288
.LBB2_371:
	s_or_b32 exec_lo, exec_lo, s7
                                        ; implicit-def: $vgpr34
                                        ; implicit-def: $vgpr54
.LBB2_372:
	s_and_not1_saveexec_b32 s6, s6
	s_cbranch_execz .LBB2_400
; %bb.373:
	v_readfirstlane_b32 s0, v54
	v_mov_b64_e32 v[2:3], 0
	s_delay_alu instid0(VALU_DEP_2)
	v_cmp_eq_u32_e64 s0, s0, v54
	s_and_saveexec_b32 s1, s0
	s_cbranch_execz .LBB2_379
; %bb.374:
	v_mov_b32_e32 v4, 0
	s_mov_b32 s4, exec_lo
	global_load_b64 v[10:11], v4, s[2:3] offset:24 scope:SCOPE_SYS
	s_wait_loadcnt 0x0
	global_inv scope:SCOPE_SYS
	s_clause 0x1
	global_load_b64 v[2:3], v4, s[2:3] offset:40
	global_load_b64 v[8:9], v4, s[2:3]
	s_wait_loadcnt 0x1
	v_and_b32_e32 v2, v2, v10
	v_and_b32_e32 v3, v3, v11
	s_delay_alu instid0(VALU_DEP_1) | instskip(SKIP_1) | instid1(VALU_DEP_1)
	v_mul_u64_e32 v[2:3], 24, v[2:3]
	s_wait_loadcnt 0x0
	v_add_nc_u64_e32 v[2:3], v[8:9], v[2:3]
	global_load_b64 v[8:9], v[2:3], off scope:SCOPE_SYS
	s_wait_xcnt 0x0
	s_wait_loadcnt 0x0
	global_atomic_cmpswap_b64 v[2:3], v4, v[8:11], s[2:3] offset:24 th:TH_ATOMIC_RETURN scope:SCOPE_SYS
	s_wait_loadcnt 0x0
	global_inv scope:SCOPE_SYS
	s_wait_xcnt 0x0
	v_cmpx_ne_u64_e64 v[2:3], v[10:11]
	s_cbranch_execz .LBB2_378
; %bb.375:
	s_mov_b32 s5, 0
.LBB2_376:                              ; =>This Inner Loop Header: Depth=1
	s_sleep 1
	s_clause 0x1
	global_load_b64 v[8:9], v4, s[2:3] offset:40
	global_load_b64 v[12:13], v4, s[2:3]
	v_mov_b64_e32 v[10:11], v[2:3]
	s_wait_loadcnt 0x1
	s_delay_alu instid0(VALU_DEP_1) | instskip(NEXT) | instid1(VALU_DEP_2)
	v_and_b32_e32 v2, v8, v10
	v_and_b32_e32 v5, v9, v11
	s_wait_loadcnt 0x0
	s_delay_alu instid0(VALU_DEP_2) | instskip(NEXT) | instid1(VALU_DEP_1)
	v_mad_nc_u64_u32 v[2:3], v2, 24, v[12:13]
	v_mad_u32 v3, v5, 24, v3
	global_load_b64 v[8:9], v[2:3], off scope:SCOPE_SYS
	s_wait_xcnt 0x0
	s_wait_loadcnt 0x0
	global_atomic_cmpswap_b64 v[2:3], v4, v[8:11], s[2:3] offset:24 th:TH_ATOMIC_RETURN scope:SCOPE_SYS
	s_wait_loadcnt 0x0
	global_inv scope:SCOPE_SYS
	v_cmp_eq_u64_e32 vcc_lo, v[2:3], v[10:11]
	s_or_b32 s5, vcc_lo, s5
	s_wait_xcnt 0x0
	s_and_not1_b32 exec_lo, exec_lo, s5
	s_cbranch_execnz .LBB2_376
; %bb.377:
	s_or_b32 exec_lo, exec_lo, s5
.LBB2_378:
	s_delay_alu instid0(SALU_CYCLE_1)
	s_or_b32 exec_lo, exec_lo, s4
.LBB2_379:
	s_delay_alu instid0(SALU_CYCLE_1)
	s_or_b32 exec_lo, exec_lo, s1
	v_readfirstlane_b32 s4, v2
	v_mov_b32_e32 v35, 0
	v_readfirstlane_b32 s5, v3
	s_mov_b32 s1, exec_lo
	s_clause 0x1
	global_load_b64 v[4:5], v35, s[2:3] offset:40
	global_load_b128 v[8:11], v35, s[2:3]
	s_wait_loadcnt 0x1
	v_and_b32_e32 v2, s4, v4
	v_and_b32_e32 v3, s5, v5
	s_delay_alu instid0(VALU_DEP_1) | instskip(SKIP_1) | instid1(VALU_DEP_1)
	v_mul_u64_e32 v[4:5], 24, v[2:3]
	s_wait_loadcnt 0x0
	v_add_nc_u64_e32 v[4:5], v[8:9], v[4:5]
	s_wait_xcnt 0x0
	s_and_saveexec_b32 s7, s0
	s_cbranch_execz .LBB2_381
; %bb.380:
	v_mov_b64_e32 v[14:15], 0x100000002
	v_dual_mov_b32 v12, s1 :: v_dual_mov_b32 v13, v35
	global_store_b128 v[4:5], v[12:15], off offset:8
.LBB2_381:
	s_wait_xcnt 0x0
	s_or_b32 exec_lo, exec_lo, s7
	v_lshlrev_b64_e32 v[2:3], 12, v[2:3]
	s_mov_b32 s12, 0
	v_and_or_b32 v0, 0xffffff1f, v0, 32
	s_mov_b32 s13, s12
	s_mov_b32 s14, s12
	;; [unrolled: 1-line block ×3, first 2 shown]
	v_mov_b64_e32 v[12:13], s[12:13]
	v_add_nc_u64_e32 v[10:11], v[10:11], v[2:3]
	v_mov_b64_e32 v[14:15], s[14:15]
	v_dual_mov_b32 v2, v35 :: v_dual_mov_b32 v3, v35
	s_delay_alu instid0(VALU_DEP_3) | instskip(NEXT) | instid1(VALU_DEP_4)
	v_readfirstlane_b32 s10, v10
	v_readfirstlane_b32 s11, v11
	s_clause 0x3
	global_store_b128 v34, v[0:3], s[10:11]
	global_store_b128 v34, v[12:15], s[10:11] offset:16
	global_store_b128 v34, v[12:15], s[10:11] offset:32
	;; [unrolled: 1-line block ×3, first 2 shown]
	s_wait_xcnt 0x0
	s_and_saveexec_b32 s1, s0
	s_cbranch_execz .LBB2_389
; %bb.382:
	v_dual_mov_b32 v12, 0 :: v_dual_mov_b32 v15, s5
	s_mov_b32 s7, exec_lo
	s_clause 0x1
	global_load_b64 v[16:17], v12, s[2:3] offset:32 scope:SCOPE_SYS
	global_load_b64 v[0:1], v12, s[2:3] offset:40
	s_wait_loadcnt 0x0
	v_dual_mov_b32 v14, s4 :: v_dual_bitop2_b32 v1, s5, v1 bitop3:0x40
	v_and_b32_e32 v0, s4, v0
	s_delay_alu instid0(VALU_DEP_1) | instskip(NEXT) | instid1(VALU_DEP_1)
	v_mul_u64_e32 v[0:1], 24, v[0:1]
	v_add_nc_u64_e32 v[8:9], v[8:9], v[0:1]
	global_store_b64 v[8:9], v[16:17], off
	global_wb scope:SCOPE_SYS
	s_wait_storecnt 0x0
	s_wait_xcnt 0x0
	global_atomic_cmpswap_b64 v[2:3], v12, v[14:17], s[2:3] offset:32 th:TH_ATOMIC_RETURN scope:SCOPE_SYS
	s_wait_loadcnt 0x0
	v_cmpx_ne_u64_e64 v[2:3], v[16:17]
	s_cbranch_execz .LBB2_385
; %bb.383:
	s_mov_b32 s10, 0
.LBB2_384:                              ; =>This Inner Loop Header: Depth=1
	v_dual_mov_b32 v0, s4 :: v_dual_mov_b32 v1, s5
	s_sleep 1
	global_store_b64 v[8:9], v[2:3], off
	global_wb scope:SCOPE_SYS
	s_wait_storecnt 0x0
	s_wait_xcnt 0x0
	global_atomic_cmpswap_b64 v[0:1], v12, v[0:3], s[2:3] offset:32 th:TH_ATOMIC_RETURN scope:SCOPE_SYS
	s_wait_loadcnt 0x0
	v_cmp_eq_u64_e32 vcc_lo, v[0:1], v[2:3]
	v_mov_b64_e32 v[2:3], v[0:1]
	s_or_b32 s10, vcc_lo, s10
	s_delay_alu instid0(SALU_CYCLE_1)
	s_and_not1_b32 exec_lo, exec_lo, s10
	s_cbranch_execnz .LBB2_384
.LBB2_385:
	s_or_b32 exec_lo, exec_lo, s7
	v_mov_b32_e32 v3, 0
	s_mov_b32 s10, exec_lo
	s_mov_b32 s7, exec_lo
	v_mbcnt_lo_u32_b32 v2, s10, 0
	global_load_b64 v[0:1], v3, s[2:3] offset:16
	s_wait_xcnt 0x0
	v_cmpx_eq_u32_e32 0, v2
	s_cbranch_execz .LBB2_387
; %bb.386:
	s_bcnt1_i32_b32 s10, s10
	s_delay_alu instid0(SALU_CYCLE_1)
	v_mov_b32_e32 v2, s10
	global_wb scope:SCOPE_SYS
	s_wait_loadcnt 0x0
	s_wait_storecnt 0x0
	global_atomic_add_u64 v[0:1], v[2:3], off offset:8 scope:SCOPE_SYS
.LBB2_387:
	s_wait_xcnt 0x0
	s_or_b32 exec_lo, exec_lo, s7
	s_wait_loadcnt 0x0
	global_load_b64 v[2:3], v[0:1], off offset:16
	s_wait_loadcnt 0x0
	v_cmp_eq_u64_e32 vcc_lo, 0, v[2:3]
	s_cbranch_vccnz .LBB2_389
; %bb.388:
	global_load_b32 v0, v[0:1], off offset:24
	s_wait_xcnt 0x0
	v_mov_b32_e32 v1, 0
	s_wait_loadcnt 0x0
	v_readfirstlane_b32 s7, v0
	global_wb scope:SCOPE_SYS
	s_wait_storecnt 0x0
	global_store_b64 v[2:3], v[0:1], off scope:SCOPE_SYS
	s_and_b32 m0, s7, 0xffffff
	s_sendmsg sendmsg(MSG_INTERRUPT)
.LBB2_389:
	s_wait_xcnt 0x0
	s_or_b32 exec_lo, exec_lo, s1
	v_add_nc_u64_e32 v[0:1], v[10:11], v[34:35]
	s_branch .LBB2_393
.LBB2_390:                              ;   in Loop: Header=BB2_393 Depth=1
	s_wait_xcnt 0x0
	s_or_b32 exec_lo, exec_lo, s1
	s_delay_alu instid0(VALU_DEP_1)
	v_readfirstlane_b32 s1, v2
	s_cmp_eq_u32 s1, 0
	s_cbranch_scc1 .LBB2_392
; %bb.391:                              ;   in Loop: Header=BB2_393 Depth=1
	s_sleep 1
	s_cbranch_execnz .LBB2_393
	s_branch .LBB2_395
.LBB2_392:
	s_branch .LBB2_395
.LBB2_393:                              ; =>This Inner Loop Header: Depth=1
	v_mov_b32_e32 v2, 1
	s_and_saveexec_b32 s1, s0
	s_cbranch_execz .LBB2_390
; %bb.394:                              ;   in Loop: Header=BB2_393 Depth=1
	global_load_b32 v2, v[4:5], off offset:20 scope:SCOPE_SYS
	s_wait_loadcnt 0x0
	global_inv scope:SCOPE_SYS
	v_and_b32_e32 v2, 1, v2
	s_branch .LBB2_390
.LBB2_395:
	global_load_b64 v[0:1], v[0:1], off
	s_wait_xcnt 0x0
	s_and_saveexec_b32 s7, s0
	s_cbranch_execz .LBB2_399
; %bb.396:
	v_mov_b32_e32 v10, 0
	s_clause 0x2
	global_load_b64 v[2:3], v10, s[2:3] offset:40
	global_load_b64 v[14:15], v10, s[2:3] offset:24 scope:SCOPE_SYS
	global_load_b64 v[4:5], v10, s[2:3]
	s_wait_loadcnt 0x2
	v_readfirstlane_b32 s10, v2
	v_readfirstlane_b32 s11, v3
	s_add_nc_u64 s[0:1], s[10:11], 1
	s_delay_alu instid0(SALU_CYCLE_1) | instskip(NEXT) | instid1(SALU_CYCLE_1)
	s_add_nc_u64 s[4:5], s[0:1], s[4:5]
	s_cmp_eq_u64 s[4:5], 0
	s_cselect_b32 s1, s1, s5
	s_cselect_b32 s0, s0, s4
	v_mov_b32_e32 v13, s1
	s_and_b64 s[4:5], s[0:1], s[10:11]
	v_mov_b32_e32 v12, s0
	s_mul_u64 s[4:5], s[4:5], 24
	s_wait_loadcnt 0x0
	v_add_nc_u64_e32 v[8:9], s[4:5], v[4:5]
	global_store_b64 v[8:9], v[14:15], off
	global_wb scope:SCOPE_SYS
	s_wait_storecnt 0x0
	s_wait_xcnt 0x0
	global_atomic_cmpswap_b64 v[4:5], v10, v[12:15], s[2:3] offset:24 th:TH_ATOMIC_RETURN scope:SCOPE_SYS
	s_wait_loadcnt 0x0
	v_cmp_ne_u64_e32 vcc_lo, v[4:5], v[14:15]
	s_and_b32 exec_lo, exec_lo, vcc_lo
	s_cbranch_execz .LBB2_399
; %bb.397:
	s_mov_b32 s4, 0
.LBB2_398:                              ; =>This Inner Loop Header: Depth=1
	v_dual_mov_b32 v2, s0 :: v_dual_mov_b32 v3, s1
	s_sleep 1
	global_store_b64 v[8:9], v[4:5], off
	global_wb scope:SCOPE_SYS
	s_wait_storecnt 0x0
	s_wait_xcnt 0x0
	global_atomic_cmpswap_b64 v[2:3], v10, v[2:5], s[2:3] offset:24 th:TH_ATOMIC_RETURN scope:SCOPE_SYS
	s_wait_loadcnt 0x0
	v_cmp_eq_u64_e32 vcc_lo, v[2:3], v[4:5]
	v_mov_b64_e32 v[4:5], v[2:3]
	s_or_b32 s4, vcc_lo, s4
	s_delay_alu instid0(SALU_CYCLE_1)
	s_and_not1_b32 exec_lo, exec_lo, s4
	s_cbranch_execnz .LBB2_398
.LBB2_399:
	s_or_b32 exec_lo, exec_lo, s7
.LBB2_400:
	s_delay_alu instid0(SALU_CYCLE_1)
	s_or_b32 exec_lo, exec_lo, s6
	v_mov_b64_e32 v[2:3], v[6:7]
	s_mov_b32 s0, 0
.LBB2_401:                              ; =>This Inner Loop Header: Depth=1
	global_load_u8 v4, v[2:3], off
	s_wait_xcnt 0x0
	v_add_nc_u64_e32 v[2:3], 1, v[2:3]
	s_wait_loadcnt 0x0
	v_cmp_eq_u16_e32 vcc_lo, 0, v4
	s_or_b32 s0, vcc_lo, s0
	s_delay_alu instid0(SALU_CYCLE_1)
	s_and_not1_b32 exec_lo, exec_lo, s0
	s_cbranch_execnz .LBB2_401
; %bb.402:
	s_or_b32 exec_lo, exec_lo, s0
	v_dual_mov_b32 v3, v7 :: v_dual_sub_nc_u32 v4, v2, v6
	s_get_pc_i64 s[0:1]
	s_add_nc_u64 s[0:1], s[0:1], __ockl_fprintf_append_string_n@rel64+4
	v_dual_mov_b32 v2, v6 :: v_dual_mov_b32 v6, 1
	s_delay_alu instid0(VALU_DEP_2)
	v_ashrrev_i32_e32 v5, 31, v4
	s_swap_pc_i64 s[30:31], s[0:1]
	s_trap 2
.Lfunc_end2:
	.size	__assert_fail, .Lfunc_end2-__assert_fail
                                        ; -- End function
	.set .L__assert_fail.num_vgpr, max(55, .L__ockl_fprintf_append_string_n.num_vgpr)
	.set .L__assert_fail.num_agpr, max(0, .L__ockl_fprintf_append_string_n.num_agpr)
	.set .L__assert_fail.numbered_sgpr, max(34, .L__ockl_fprintf_append_string_n.numbered_sgpr)
	.set .L__assert_fail.num_named_barrier, max(0, .L__ockl_fprintf_append_string_n.num_named_barrier)
	.set .L__assert_fail.private_seg_size, 64+max(.L__ockl_fprintf_append_string_n.private_seg_size)
	.set .L__assert_fail.uses_vcc, or(1, .L__ockl_fprintf_append_string_n.uses_vcc)
	.set .L__assert_fail.uses_flat_scratch, or(1, .L__ockl_fprintf_append_string_n.uses_flat_scratch)
	.set .L__assert_fail.has_dyn_sized_stack, or(0, .L__ockl_fprintf_append_string_n.has_dyn_sized_stack)
	.set .L__assert_fail.has_recursion, or(0, .L__ockl_fprintf_append_string_n.has_recursion)
	.set .L__assert_fail.has_indirect_call, or(0, .L__ockl_fprintf_append_string_n.has_indirect_call)
	.section	.AMDGPU.csdata,"",@progbits
; Function info:
; codeLenInByte = 16056
; TotalNumSgprs: 36
; NumVgprs: 55
; ScratchSize: 64
; MemoryBound: 0
	.section	.text._ZL29soft_max_f32_parallelize_colsPKfPfS1_S1_15soft_max_params,"axG",@progbits,_ZL29soft_max_f32_parallelize_colsPKfPfS1_S1_15soft_max_params,comdat
	.globl	_ZL29soft_max_f32_parallelize_colsPKfPfS1_S1_15soft_max_params ; -- Begin function _ZL29soft_max_f32_parallelize_colsPKfPfS1_S1_15soft_max_params
	.p2align	8
	.type	_ZL29soft_max_f32_parallelize_colsPKfPfS1_S1_15soft_max_params,@function
_ZL29soft_max_f32_parallelize_colsPKfPfS1_S1_15soft_max_params: ; @_ZL29soft_max_f32_parallelize_colsPKfPfS1_S1_15soft_max_params
; %bb.0:
	s_clause 0x1
	s_load_b128 s[4:7], s[0:1], 0x50
	s_load_b64 s[2:3], s[0:1], 0x60
	s_mov_b32 s32, 0
	s_wait_kmcnt 0x0
	s_mul_u64 s[4:5], s[6:7], s[4:5]
	s_delay_alu instid0(SALU_CYCLE_1) | instskip(NEXT) | instid1(SALU_CYCLE_1)
	s_mul_u64 s[10:11], s[4:5], s[2:3]
	v_cmp_lt_i64_e64 s2, s[10:11], 1
	s_and_b32 vcc_lo, exec_lo, s2
	s_cbranch_vccnz .LBB3_126
; %bb.1:
	s_clause 0x1
	s_load_b32 s28, s[0:1], 0xa0
	s_load_b256 s[20:27], s[0:1], 0x0
	v_mbcnt_lo_u32_b32 v1, -1, 0
	s_bfe_u32 s4, ttmp6, 0x4000c
	s_add_nc_u64 s[2:3], s[0:1], 32
	s_add_co_i32 s4, s4, 1
	s_add_nc_u64 s[18:19], s[0:1], 0xa0
	v_xor_b32_e32 v2, 16, v1
	s_wait_xcnt 0x0
	s_and_b32 s0, ttmp6, 15
	s_mul_i32 s4, ttmp9, s4
	s_getreg_b32 s5, hwreg(HW_REG_IB_STS2, 6, 4)
	s_add_co_i32 s0, s0, s4
	v_cmp_gt_i32_e32 vcc_lo, 32, v2
	s_cmp_eq_u32 s5, 0
	v_and_b32_e32 v4, 31, v0
	s_cselect_b32 s6, ttmp9, s0
	s_mov_b32 s1, 0
	v_dual_cndmask_b32 v2, v1, v2, vcc_lo :: v_dual_bitop2_b32 v7, 1, v1 bitop3:0x14
	s_mov_b32 s7, s1
	s_wait_kmcnt 0x0
	s_cmp_lt_u32 s6, s28
	s_load_b64 s[12:13], s[2:3], 0x10
	s_cselect_b32 s0, 12, 18
	v_dual_lshlrev_b32 v17, 2, v2 :: v_dual_bitop2_b32 v6, 2, v1 bitop3:0x14
	v_xor_b32_e32 v3, 8, v1
	s_add_nc_u64 s[0:1], s[18:19], s[0:1]
	v_and_b32_e32 v14, 0x3ff, v0
	s_load_u16 s29, s[0:1], 0x0
	v_bfe_u32 v15, v0, 3, 7
	v_cmp_gt_i32_e32 vcc_lo, 32, v3
	v_xor_b32_e32 v5, 4, v1
	s_wait_xcnt 0x0
	v_cmp_eq_u32_e64 s0, 0, v4
	v_lshlrev_b32_e32 v16, 2, v4
	v_cmp_eq_u32_e64 s3, 0, v14
	v_cndmask_b32_e32 v3, v1, v3, vcc_lo
	v_cmp_gt_i32_e32 vcc_lo, 32, v5
	v_cmp_gt_u32_e64 s5, s28, v14
	s_delay_alu instid0(VALU_DEP_3)
	v_dual_cndmask_b32 v5, v1, v5 :: v_dual_lshlrev_b32 v18, 2, v3
	v_cmp_gt_i32_e32 vcc_lo, 32, v6
	v_cndmask_b32_e32 v6, v1, v6, vcc_lo
	v_cmp_gt_i32_e32 vcc_lo, 32, v7
	s_wait_kmcnt 0x0
	s_mul_i32 s30, s6, s29
	s_cmp_gt_u32 s29, 32
	v_dual_lshlrev_b32 v19, 2, v5 :: v_dual_lshlrev_b32 v20, 2, v6
	v_dual_cndmask_b32 v1, v1, v7 :: v_dual_add_nc_u32 v2, s30, v14
	s_cselect_b32 s31, -1, 0
	s_cmp_lt_u32 s29, 0x401
	s_cselect_b32 s1, -1, 0
	s_and_b32 s2, s29, 31
	v_lshlrev_b32_e32 v21, 2, v1
	s_cmp_eq_u32 s2, 0
	v_dual_ashrrev_i32 v3, 31, v2 :: v_dual_mov_b32 v1, 0
	s_cselect_b32 s33, -1, 0
	s_lshr_b32 s2, s29, 5
	s_and_b32 s34, s1, s33
	s_lshl_b64 s[8:9], s[6:7], 2
	v_cmp_gt_u32_e64 s1, s2, v4
	v_cmp_gt_i64_e64 s2, s[12:13], v[2:3]
	v_and_b32_e32 v2, 0x3fffffff, v0
	v_lshlrev_b32_e32 v0, 2, v14
	s_cmp_lt_u32 s28, s29
	s_add_nc_u64 s[14:15], s[24:25], s[8:9]
	s_cselect_b32 s35, -1, 0
	s_lshl_b32 s7, s28, 1
	v_cmp_eq_u32_e64 s4, 0, v2
	s_add_co_i32 s36, s6, s7
	s_mul_i32 s7, s28, s29
	v_add_nc_u64_e32 v[2:3], s[24:25], v[0:1]
	v_add_nc_u64_e32 v[4:5], s[26:27], v[0:1]
	s_add_nc_u64 s[16:17], s[26:27], s[8:9]
	s_mul_i32 s8, s28, 3
	s_lshl_b32 s37, s7, 2
	s_lshl_b32 s7, s28, 2
	s_add_co_i32 s38, s6, s8
	s_add_co_i32 s39, s6, s7
	;; [unrolled: 1-line block ×3, first 2 shown]
	s_mul_i32 s36, s36, s29
	s_mul_i32 s38, s38, s29
	;; [unrolled: 1-line block ×4, first 2 shown]
	s_mov_b64 s[24:25], 0
	s_branch .LBB3_5
.LBB3_2:                                ;   in Loop: Header=BB3_5 Depth=1
	s_mov_b32 s8, 0
.LBB3_3:                                ;   in Loop: Header=BB3_5 Depth=1
                                        ; implicit-def: $sgpr24_sgpr25
.LBB3_4:                                ;   in Loop: Header=BB3_5 Depth=1
	s_and_b32 vcc_lo, exec_lo, s43
	s_cbranch_vccnz .LBB3_122
.LBB3_5:                                ; =>This Loop Header: Depth=1
                                        ;     Child Loop BB3_8 Depth 2
                                        ;     Child Loop BB3_36 Depth 2
	;; [unrolled: 1-line block ×5, first 2 shown]
	s_mul_u64 s[6:7], s[24:25], s[12:13]
	v_mov_b32_e32 v0, 0xff800000
	s_lshl_b64 s[6:7], s[6:7], 2
	s_delay_alu instid0(SALU_CYCLE_1)
	s_add_nc_u64 s[28:29], s[20:21], s[6:7]
	s_and_saveexec_b32 s8, s2
	s_cbranch_execz .LBB3_17
; %bb.6:                                ;   in Loop: Header=BB3_5 Depth=1
	v_mov_b32_e32 v0, 0xff800000
	v_mov_b32_e32 v8, v14
	s_mov_b32 s9, 0
	s_branch .LBB3_8
.LBB3_7:                                ;   in Loop: Header=BB3_8 Depth=2
	s_wait_xcnt 0x0
	s_or_b32 exec_lo, exec_lo, s26
	v_dual_add_nc_u32 v6, s39, v8 :: v_dual_add_nc_u32 v8, s37, v8
	s_wait_loadcnt 0x0
	v_max3_num_f32 v0, v0, v9, v11
	s_delay_alu instid0(VALU_DEP_2) | instskip(NEXT) | instid1(VALU_DEP_2)
	v_ashrrev_i32_e32 v7, 31, v6
	v_max3_num_f32 v0, v0, v10, v12
	s_delay_alu instid0(VALU_DEP_2) | instskip(SKIP_1) | instid1(SALU_CYCLE_1)
	v_cmp_le_i64_e32 vcc_lo, s[12:13], v[6:7]
	s_or_b32 s9, vcc_lo, s9
	s_and_not1_b32 exec_lo, exec_lo, s9
	s_cbranch_execz .LBB3_16
.LBB3_8:                                ;   Parent Loop BB3_5 Depth=1
                                        ; =>  This Inner Loop Header: Depth=2
	s_delay_alu instid0(VALU_DEP_1) | instskip(SKIP_1) | instid1(VALU_DEP_1)
	v_dual_mov_b32 v9, 0xff800000 :: v_dual_add_nc_u32 v6, s30, v8
	s_mov_b32 s26, exec_lo
	v_ashrrev_i32_e32 v7, 31, v6
	s_delay_alu instid0(VALU_DEP_1)
	v_cmpx_gt_i64_e64 s[12:13], v[6:7]
	s_cbranch_execz .LBB3_10
; %bb.9:                                ;   in Loop: Header=BB3_8 Depth=2
	v_lshl_add_u64 v[6:7], v[6:7], 2, s[28:29]
	global_load_b32 v9, v[6:7], off
.LBB3_10:                               ;   in Loop: Header=BB3_8 Depth=2
	s_wait_xcnt 0x0
	s_or_b32 exec_lo, exec_lo, s26
	v_dual_mov_b32 v11, 0xff800000 :: v_dual_add_nc_u32 v6, s40, v8
	s_mov_b32 s26, exec_lo
	s_delay_alu instid0(VALU_DEP_1) | instskip(NEXT) | instid1(VALU_DEP_1)
	v_dual_mov_b32 v10, 0xff800000 :: v_dual_ashrrev_i32 v7, 31, v6
	v_cmpx_gt_i64_e64 s[12:13], v[6:7]
	s_cbranch_execz .LBB3_12
; %bb.11:                               ;   in Loop: Header=BB3_8 Depth=2
	v_lshl_add_u64 v[6:7], v[6:7], 2, s[28:29]
	global_load_b32 v11, v[6:7], off
.LBB3_12:                               ;   in Loop: Header=BB3_8 Depth=2
	s_wait_xcnt 0x0
	s_or_b32 exec_lo, exec_lo, s26
	v_add_nc_u32_e32 v6, s36, v8
	s_mov_b32 s26, exec_lo
	s_delay_alu instid0(VALU_DEP_1) | instskip(NEXT) | instid1(VALU_DEP_1)
	v_ashrrev_i32_e32 v7, 31, v6
	v_cmpx_gt_i64_e64 s[12:13], v[6:7]
	s_cbranch_execz .LBB3_14
; %bb.13:                               ;   in Loop: Header=BB3_8 Depth=2
	v_lshl_add_u64 v[6:7], v[6:7], 2, s[28:29]
	global_load_b32 v10, v[6:7], off
.LBB3_14:                               ;   in Loop: Header=BB3_8 Depth=2
	s_wait_xcnt 0x0
	s_or_b32 exec_lo, exec_lo, s26
	v_add_nc_u32_e32 v6, s38, v8
	s_mov_b32 s26, exec_lo
	s_delay_alu instid0(VALU_DEP_1) | instskip(NEXT) | instid1(VALU_DEP_1)
	v_dual_mov_b32 v12, 0xff800000 :: v_dual_ashrrev_i32 v7, 31, v6
	v_cmpx_gt_i64_e64 s[12:13], v[6:7]
	s_cbranch_execz .LBB3_7
; %bb.15:                               ;   in Loop: Header=BB3_8 Depth=2
	v_lshl_add_u64 v[6:7], v[6:7], 2, s[28:29]
	global_load_b32 v12, v[6:7], off
	s_branch .LBB3_7
.LBB3_16:                               ;   in Loop: Header=BB3_5 Depth=1
	s_or_b32 exec_lo, exec_lo, s9
.LBB3_17:                               ;   in Loop: Header=BB3_5 Depth=1
	s_delay_alu instid0(SALU_CYCLE_1)
	s_or_b32 exec_lo, exec_lo, s8
	ds_bpermute_b32 v6, v17, v0
	s_and_not1_b32 vcc_lo, exec_lo, s31
	s_mov_b32 s9, -1
	s_wait_dscnt 0x0
	v_dual_max_num_f32 v0, v0, v0 :: v_dual_max_num_f32 v6, v6, v6
	s_delay_alu instid0(VALU_DEP_1) | instskip(SKIP_3) | instid1(VALU_DEP_1)
	v_max_num_f32_e32 v0, v0, v6
	ds_bpermute_b32 v6, v18, v0
	s_wait_dscnt 0x0
	v_max_num_f32_e32 v6, v6, v6
	v_max_num_f32_e32 v0, v0, v6
	ds_bpermute_b32 v6, v19, v0
	s_wait_dscnt 0x0
	v_max_num_f32_e32 v6, v6, v6
	s_delay_alu instid0(VALU_DEP_1) | instskip(SKIP_3) | instid1(VALU_DEP_1)
	v_max_num_f32_e32 v0, v0, v6
	ds_bpermute_b32 v6, v20, v0
	s_wait_dscnt 0x0
	v_max_num_f32_e32 v6, v6, v6
	v_max_num_f32_e32 v0, v0, v6
	ds_bpermute_b32 v6, v21, v0
	s_wait_dscnt 0x0
	v_max_num_f32_e32 v6, v6, v6
	s_delay_alu instid0(VALU_DEP_1)
	v_max_num_f32_e32 v0, v0, v6
	s_cbranch_vccnz .LBB3_24
; %bb.18:                               ;   in Loop: Header=BB3_5 Depth=1
	s_and_b32 vcc_lo, exec_lo, s34
	s_mov_b32 s8, 0
	s_cbranch_vccz .LBB3_25
; %bb.19:                               ;   in Loop: Header=BB3_5 Depth=1
	s_and_saveexec_b32 s8, s0
; %bb.20:                               ;   in Loop: Header=BB3_5 Depth=1
	ds_store_b32 v15, v0
; %bb.21:                               ;   in Loop: Header=BB3_5 Depth=1
	s_or_b32 exec_lo, exec_lo, s8
	v_mov_b32_e32 v0, 0xff800000
	s_wait_dscnt 0x0
	s_barrier_signal -1
	s_barrier_wait -1
	s_and_saveexec_b32 s8, s1
; %bb.22:                               ;   in Loop: Header=BB3_5 Depth=1
	ds_load_b32 v0, v16
; %bb.23:                               ;   in Loop: Header=BB3_5 Depth=1
	s_or_b32 exec_lo, exec_lo, s8
	s_wait_dscnt 0x0
	ds_bpermute_b32 v6, v17, v0
	s_wait_dscnt 0x0
	v_dual_max_num_f32 v0, v0, v0 :: v_dual_max_num_f32 v6, v6, v6
	s_delay_alu instid0(VALU_DEP_1) | instskip(SKIP_3) | instid1(VALU_DEP_1)
	v_max_num_f32_e32 v0, v0, v6
	ds_bpermute_b32 v6, v18, v0
	s_wait_dscnt 0x0
	v_max_num_f32_e32 v6, v6, v6
	v_max_num_f32_e32 v0, v0, v6
	ds_bpermute_b32 v6, v19, v0
	s_wait_dscnt 0x0
	v_max_num_f32_e32 v6, v6, v6
	s_delay_alu instid0(VALU_DEP_1) | instskip(SKIP_3) | instid1(VALU_DEP_1)
	v_max_num_f32_e32 v0, v0, v6
	ds_bpermute_b32 v6, v20, v0
	s_wait_dscnt 0x0
	v_max_num_f32_e32 v6, v6, v6
	v_max_num_f32_e32 v0, v0, v6
	ds_bpermute_b32 v6, v21, v0
	s_wait_dscnt 0x0
	v_max_num_f32_e32 v6, v6, v6
	s_delay_alu instid0(VALU_DEP_1)
	v_max_num_f32_e32 v0, v0, v6
.LBB3_24:                               ;   in Loop: Header=BB3_5 Depth=1
	s_mov_b32 s8, -1
.LBB3_25:                               ;   in Loop: Header=BB3_5 Depth=1
	s_mov_b32 s44, 0
	s_and_b32 vcc_lo, exec_lo, s8
	s_mov_b32 s8, 0
	s_mov_b32 s42, 0
	;; [unrolled: 1-line block ×3, first 2 shown]
	s_mov_b32 s43, -1
	s_cbranch_vccz .LBB3_4
; %bb.26:                               ;   in Loop: Header=BB3_5 Depth=1
	s_and_saveexec_b32 s8, s3
	s_cbranch_execz .LBB3_28
; %bb.27:                               ;   in Loop: Header=BB3_5 Depth=1
	global_store_b32 v1, v0, s[14:15]
.LBB3_28:                               ;   in Loop: Header=BB3_5 Depth=1
	s_wait_xcnt 0x0
	s_or_b32 exec_lo, exec_lo, s8
	s_wait_storecnt 0x0
	s_barrier_signal -1
	s_barrier_wait -1
	s_and_saveexec_b32 s26, s4
	s_cbranch_execz .LBB3_38
; %bb.29:                               ;   in Loop: Header=BB3_5 Depth=1
	global_wb scope:SCOPE_DEV
	s_wait_storecnt 0x0
	s_load_b64 s[8:9], s[18:19], 0x58
	s_mov_b32 s27, exec_lo
	s_mov_b32 s41, exec_lo
	v_mbcnt_lo_u32_b32 v6, s27, 0
                                        ; implicit-def: $vgpr7
	s_wait_kmcnt 0x0
	global_load_b32 v0, v1, s[8:9] offset:40
	s_wait_xcnt 0x0
	v_cmpx_eq_u32_e32 0, v6
	s_cbranch_execz .LBB3_31
; %bb.30:                               ;   in Loop: Header=BB3_5 Depth=1
	s_bcnt1_i32_b32 s27, s27
	s_delay_alu instid0(SALU_CYCLE_1)
	v_mov_b32_e32 v7, s27
	global_atomic_add_u32 v7, v1, v7, s[8:9] offset:32 th:TH_ATOMIC_RETURN scope:SCOPE_DEV
.LBB3_31:                               ;   in Loop: Header=BB3_5 Depth=1
	s_wait_xcnt 0x0
	s_or_b32 exec_lo, exec_lo, s41
	s_wait_loadcnt 0x0
	v_readfirstlane_b32 s27, v7
	s_delay_alu instid0(VALU_DEP_1) | instskip(SKIP_1) | instid1(VALU_DEP_1)
	v_dual_add_nc_u32 v8, -1, v0 :: v_dual_add_nc_u32 v6, s27, v6
	s_mov_b32 s27, exec_lo
	v_and_b32_e32 v7, 0xffff, v6
	s_delay_alu instid0(VALU_DEP_1)
	v_cmpx_eq_u32_e64 v7, v8
	s_cbranch_execz .LBB3_34
; %bb.32:                               ;   in Loop: Header=BB3_5 Depth=1
	s_mov_b32 s41, exec_lo
	s_delay_alu instid0(SALU_CYCLE_1) | instskip(NEXT) | instid1(VALU_DEP_1)
	v_mbcnt_lo_u32_b32 v7, s41, 0
	v_cmp_eq_u32_e32 vcc_lo, 0, v7
	s_and_b32 s42, exec_lo, vcc_lo
	s_delay_alu instid0(SALU_CYCLE_1)
	s_mov_b32 exec_lo, s42
	s_cbranch_execz .LBB3_34
; %bb.33:                               ;   in Loop: Header=BB3_5 Depth=1
	v_sub_nc_u32_e32 v0, 0x10000, v0
	s_bcnt1_i32_b32 s41, s41
	s_delay_alu instid0(VALU_DEP_1) | instid1(SALU_CYCLE_1)
	v_mul_lo_u32 v0, v0, s41
	global_atomic_add_u32 v1, v0, s[8:9] offset:32 scope:SCOPE_DEV
.LBB3_34:                               ;   in Loop: Header=BB3_5 Depth=1
	s_wait_xcnt 0x0
	s_or_b32 exec_lo, exec_lo, s27
	global_load_b32 v7, v1, s[8:9] offset:32 scope:SCOPE_DEV
	v_and_b32_e32 v0, 0xffff0000, v6
	s_wait_loadcnt 0x0
	v_and_b32_e32 v6, 0xffff0000, v7
	s_delay_alu instid0(VALU_DEP_1)
	v_cmp_eq_u32_e32 vcc_lo, v6, v0
	s_wait_xcnt 0x0
	s_and_b32 exec_lo, exec_lo, vcc_lo
	s_cbranch_execz .LBB3_37
; %bb.35:                               ;   in Loop: Header=BB3_5 Depth=1
	s_mov_b32 s27, 0
.LBB3_36:                               ;   Parent Loop BB3_5 Depth=1
                                        ; =>  This Inner Loop Header: Depth=2
	s_sleep 1
	global_load_b32 v6, v1, s[8:9] offset:32 scope:SCOPE_DEV
	s_wait_loadcnt 0x0
	v_and_b32_e32 v6, 0xffff0000, v6
	s_delay_alu instid0(VALU_DEP_1)
	v_cmp_ne_u32_e32 vcc_lo, v6, v0
	s_or_b32 s27, vcc_lo, s27
	s_wait_xcnt 0x0
	s_and_not1_b32 exec_lo, exec_lo, s27
	s_cbranch_execnz .LBB3_36
.LBB3_37:                               ;   in Loop: Header=BB3_5 Depth=1
	s_wait_storecnt 0x0
	global_inv scope:SCOPE_DEV
	s_wait_loadcnt 0x0
.LBB3_38:                               ;   in Loop: Header=BB3_5 Depth=1
	s_or_b32 exec_lo, exec_lo, s26
	s_mov_b32 s41, -1
	s_mov_b32 s9, 0
	s_and_b32 vcc_lo, exec_lo, s35
	s_mov_b32 s44, 0
	s_mov_b32 s8, 0
	;; [unrolled: 1-line block ×3, first 2 shown]
	s_mov_b32 s43, -1
	s_barrier_signal -1
	s_barrier_wait -1
	s_cbranch_vccz .LBB3_4
; %bb.39:                               ;   in Loop: Header=BB3_5 Depth=1
	v_mov_b32_e32 v0, 0xff800000
	s_and_saveexec_b32 s8, s5
	s_cbranch_execz .LBB3_41
; %bb.40:                               ;   in Loop: Header=BB3_5 Depth=1
	global_load_b32 v0, v[2:3], off
.LBB3_41:                               ;   in Loop: Header=BB3_5 Depth=1
	s_wait_xcnt 0x0
	s_or_b32 exec_lo, exec_lo, s8
	s_wait_loadcnt 0x0
	ds_bpermute_b32 v6, v17, v0
	s_and_not1_b32 vcc_lo, exec_lo, s31
	s_wait_dscnt 0x0
	v_dual_max_num_f32 v0, v0, v0 :: v_dual_max_num_f32 v6, v6, v6
	s_delay_alu instid0(VALU_DEP_1) | instskip(SKIP_3) | instid1(VALU_DEP_1)
	v_max_num_f32_e32 v0, v0, v6
	ds_bpermute_b32 v6, v18, v0
	s_wait_dscnt 0x0
	v_max_num_f32_e32 v6, v6, v6
	v_max_num_f32_e32 v0, v0, v6
	ds_bpermute_b32 v6, v19, v0
	s_wait_dscnt 0x0
	v_max_num_f32_e32 v6, v6, v6
	s_delay_alu instid0(VALU_DEP_1) | instskip(SKIP_3) | instid1(VALU_DEP_1)
	v_max_num_f32_e32 v0, v0, v6
	ds_bpermute_b32 v6, v20, v0
	s_wait_dscnt 0x0
	v_max_num_f32_e32 v6, v6, v6
	v_max_num_f32_e32 v0, v0, v6
	ds_bpermute_b32 v6, v21, v0
	s_wait_dscnt 0x0
	v_max_num_f32_e32 v6, v6, v6
	s_delay_alu instid0(VALU_DEP_1)
	v_max_num_f32_e32 v0, v0, v6
	s_cbranch_vccnz .LBB3_44
; %bb.42:                               ;   in Loop: Header=BB3_5 Depth=1
	s_mov_b32 s41, 0
	s_and_b32 vcc_lo, exec_lo, s33
	s_mov_b32 s8, 0
	s_cbranch_vccnz .LBB3_45
; %bb.43:                               ;   in Loop: Header=BB3_5 Depth=1
	s_mov_b32 s42, -1
	s_and_b32 vcc_lo, exec_lo, s8
	s_cbranch_vccz .LBB3_2
	s_branch .LBB3_50
.LBB3_44:                               ;   in Loop: Header=BB3_5 Depth=1
	s_cbranch_execz .LBB3_2
	s_branch .LBB3_50
.LBB3_45:                               ;   in Loop: Header=BB3_5 Depth=1
	s_and_saveexec_b32 s8, s0
; %bb.46:                               ;   in Loop: Header=BB3_5 Depth=1
	ds_store_b32 v15, v0
; %bb.47:                               ;   in Loop: Header=BB3_5 Depth=1
	s_or_b32 exec_lo, exec_lo, s8
	v_mov_b32_e32 v0, 0xff800000
	s_wait_dscnt 0x0
	s_barrier_signal -1
	s_barrier_wait -1
	s_and_saveexec_b32 s8, s1
; %bb.48:                               ;   in Loop: Header=BB3_5 Depth=1
	ds_load_b32 v0, v16
; %bb.49:                               ;   in Loop: Header=BB3_5 Depth=1
	s_or_b32 exec_lo, exec_lo, s8
	s_wait_dscnt 0x0
	ds_bpermute_b32 v6, v17, v0
	s_mov_b32 s42, -1
	s_wait_dscnt 0x0
	v_dual_max_num_f32 v0, v0, v0 :: v_dual_max_num_f32 v6, v6, v6
	s_delay_alu instid0(VALU_DEP_1) | instskip(SKIP_3) | instid1(VALU_DEP_1)
	v_max_num_f32_e32 v0, v0, v6
	ds_bpermute_b32 v6, v18, v0
	s_wait_dscnt 0x0
	v_max_num_f32_e32 v6, v6, v6
	v_max_num_f32_e32 v0, v0, v6
	ds_bpermute_b32 v6, v19, v0
	s_wait_dscnt 0x0
	v_max_num_f32_e32 v6, v6, v6
	s_delay_alu instid0(VALU_DEP_1) | instskip(SKIP_3) | instid1(VALU_DEP_1)
	v_max_num_f32_e32 v0, v0, v6
	ds_bpermute_b32 v6, v20, v0
	s_wait_dscnt 0x0
	v_max_num_f32_e32 v6, v6, v6
	v_max_num_f32_e32 v0, v0, v6
	ds_bpermute_b32 v6, v21, v0
	s_wait_dscnt 0x0
	v_max_num_f32_e32 v6, v6, v6
	s_delay_alu instid0(VALU_DEP_1)
	v_max_num_f32_e32 v0, v0, v6
	s_cbranch_execz .LBB3_2
.LBB3_50:                               ;   in Loop: Header=BB3_5 Depth=1
	v_mov_b32_e32 v22, 0
	s_add_nc_u64 s[26:27], s[22:23], s[6:7]
	s_and_saveexec_b32 s43, s2
	s_cbranch_execz .LBB3_70
; %bb.51:                               ;   in Loop: Header=BB3_5 Depth=1
	v_dual_mov_b32 v22, 0 :: v_dual_mov_b32 v23, v14
	s_branch .LBB3_53
.LBB3_52:                               ;   in Loop: Header=BB3_53 Depth=2
	s_wait_xcnt 0x0
	s_or_b32 exec_lo, exec_lo, s6
	v_dual_add_nc_u32 v6, s39, v23 :: v_dual_add_nc_u32 v23, s37, v23
	s_delay_alu instid0(VALU_DEP_1) | instskip(NEXT) | instid1(VALU_DEP_1)
	v_ashrrev_i32_e32 v7, 31, v6
	v_cmp_le_i64_e32 vcc_lo, s[12:13], v[6:7]
	s_or_b32 s44, vcc_lo, s44
	s_delay_alu instid0(SALU_CYCLE_1)
	s_and_not1_b32 exec_lo, exec_lo, s44
	s_cbranch_execz .LBB3_69
.LBB3_53:                               ;   Parent Loop BB3_5 Depth=1
                                        ; =>  This Inner Loop Header: Depth=2
	s_wait_loadcnt 0x0
	s_delay_alu instid0(VALU_DEP_1) | instskip(SKIP_1) | instid1(VALU_DEP_2)
	v_dual_mov_b32 v25, 0xff800000 :: v_dual_add_nc_u32 v12, s30, v23
	v_mov_b32_e32 v27, 0xff800000
	v_ashrrev_i32_e32 v13, 31, v12
	s_delay_alu instid0(VALU_DEP_1)
	v_cmp_gt_i64_e64 s8, s[12:13], v[12:13]
	s_and_saveexec_b32 s6, s8
	s_cbranch_execz .LBB3_55
; %bb.54:                               ;   in Loop: Header=BB3_53 Depth=2
	v_lshl_add_u64 v[6:7], v[12:13], 2, s[28:29]
	global_load_b32 v27, v[6:7], off
.LBB3_55:                               ;   in Loop: Header=BB3_53 Depth=2
	s_wait_xcnt 0x0
	s_or_b32 exec_lo, exec_lo, s6
	v_add_nc_u32_e32 v10, s40, v23
	s_delay_alu instid0(VALU_DEP_1) | instskip(NEXT) | instid1(VALU_DEP_1)
	v_ashrrev_i32_e32 v11, 31, v10
	v_cmp_gt_i64_e64 s7, s[12:13], v[10:11]
	s_and_saveexec_b32 s6, s7
	s_cbranch_execz .LBB3_57
; %bb.56:                               ;   in Loop: Header=BB3_53 Depth=2
	v_lshl_add_u64 v[6:7], v[10:11], 2, s[28:29]
	global_load_b32 v25, v[6:7], off
.LBB3_57:                               ;   in Loop: Header=BB3_53 Depth=2
	s_wait_xcnt 0x0
	s_or_b32 exec_lo, exec_lo, s6
	v_add_nc_u32_e32 v8, s36, v23
	v_mov_b32_e32 v26, 0xff800000
	s_delay_alu instid0(VALU_DEP_2) | instskip(NEXT) | instid1(VALU_DEP_1)
	v_dual_mov_b32 v24, 0xff800000 :: v_dual_ashrrev_i32 v9, 31, v8
	v_cmp_gt_i64_e64 s6, s[12:13], v[8:9]
	s_and_saveexec_b32 s45, s6
	s_cbranch_execz .LBB3_59
; %bb.58:                               ;   in Loop: Header=BB3_53 Depth=2
	v_lshl_add_u64 v[6:7], v[8:9], 2, s[28:29]
	global_load_b32 v26, v[6:7], off
.LBB3_59:                               ;   in Loop: Header=BB3_53 Depth=2
	s_wait_xcnt 0x0
	s_or_b32 exec_lo, exec_lo, s45
	v_add_nc_u32_e32 v6, s38, v23
	s_delay_alu instid0(VALU_DEP_1) | instskip(NEXT) | instid1(VALU_DEP_1)
	v_ashrrev_i32_e32 v7, 31, v6
	v_cmp_gt_i64_e32 vcc_lo, s[12:13], v[6:7]
	s_and_saveexec_b32 s45, vcc_lo
	s_cbranch_execnz .LBB3_64
; %bb.60:                               ;   in Loop: Header=BB3_53 Depth=2
	s_or_b32 exec_lo, exec_lo, s45
	s_and_saveexec_b32 s45, s8
	s_cbranch_execnz .LBB3_65
.LBB3_61:                               ;   in Loop: Header=BB3_53 Depth=2
	s_or_b32 exec_lo, exec_lo, s45
	s_and_saveexec_b32 s8, s7
	s_cbranch_execnz .LBB3_66
.LBB3_62:                               ;   in Loop: Header=BB3_53 Depth=2
	s_or_b32 exec_lo, exec_lo, s8
	s_and_saveexec_b32 s7, s6
	s_cbranch_execnz .LBB3_67
.LBB3_63:                               ;   in Loop: Header=BB3_53 Depth=2
	s_or_b32 exec_lo, exec_lo, s7
	s_and_saveexec_b32 s6, vcc_lo
	s_cbranch_execz .LBB3_52
	s_branch .LBB3_68
.LBB3_64:                               ;   in Loop: Header=BB3_53 Depth=2
	v_lshl_add_u64 v[28:29], v[6:7], 2, s[28:29]
	global_load_b32 v24, v[28:29], off
	s_wait_xcnt 0x0
	s_or_b32 exec_lo, exec_lo, s45
	s_and_saveexec_b32 s45, s8
	s_cbranch_execz .LBB3_61
.LBB3_65:                               ;   in Loop: Header=BB3_53 Depth=2
	s_wait_loadcnt 0x0
	v_sub_f32_e32 v27, v27, v0
	v_lshl_add_u64 v[12:13], v[12:13], 2, s[26:27]
	s_delay_alu instid0(VALU_DEP_2) | instskip(NEXT) | instid1(VALU_DEP_1)
	v_mul_f32_e32 v28, 0x3fb8aa3b, v27
	v_fma_f32 v29, 0x3fb8aa3b, v27, -v28
	v_rndne_f32_e32 v30, v28
	s_delay_alu instid0(VALU_DEP_1) | instskip(SKIP_1) | instid1(VALU_DEP_2)
	v_dual_sub_f32 v28, v28, v30 :: v_dual_fmac_f32 v29, 0x32a5705f, v27
	v_cmp_ngt_f32_e64 s8, 0xc2ce8ed0, v27
	v_add_f32_e32 v28, v28, v29
	v_cvt_i32_f32_e32 v29, v30
	s_delay_alu instid0(VALU_DEP_2) | instskip(SKIP_1) | instid1(TRANS32_DEP_1)
	v_exp_f32_e32 v28, v28
	v_nop
	v_ldexp_f32 v28, v28, v29
	s_delay_alu instid0(VALU_DEP_1) | instskip(SKIP_1) | instid1(VALU_DEP_1)
	v_cndmask_b32_e64 v28, 0, v28, s8
	v_cmp_nlt_f32_e64 s8, 0x42b17218, v27
	v_cndmask_b32_e64 v27, 0x7f800000, v28, s8
	s_delay_alu instid0(VALU_DEP_1)
	v_add_f32_e32 v22, v22, v27
	global_store_b32 v[12:13], v27, off
	s_wait_xcnt 0x0
	s_or_b32 exec_lo, exec_lo, s45
	s_and_saveexec_b32 s8, s7
	s_cbranch_execz .LBB3_62
.LBB3_66:                               ;   in Loop: Header=BB3_53 Depth=2
	s_wait_loadcnt 0x0
	v_sub_f32_e32 v12, v25, v0
	v_lshl_add_u64 v[10:11], v[10:11], 2, s[26:27]
	s_delay_alu instid0(VALU_DEP_2) | instskip(SKIP_1) | instid1(VALU_DEP_2)
	v_mul_f32_e32 v13, 0x3fb8aa3b, v12
	v_cmp_ngt_f32_e64 s7, 0xc2ce8ed0, v12
	v_fma_f32 v25, 0x3fb8aa3b, v12, -v13
	v_rndne_f32_e32 v27, v13
	s_delay_alu instid0(VALU_DEP_2) | instskip(NEXT) | instid1(VALU_DEP_2)
	v_fmac_f32_e32 v25, 0x32a5705f, v12
	v_sub_f32_e32 v13, v13, v27
	s_delay_alu instid0(VALU_DEP_1) | instskip(SKIP_1) | instid1(VALU_DEP_2)
	v_add_f32_e32 v13, v13, v25
	v_cvt_i32_f32_e32 v25, v27
	v_exp_f32_e32 v13, v13
	v_nop
	s_delay_alu instid0(TRANS32_DEP_1) | instskip(NEXT) | instid1(VALU_DEP_1)
	v_ldexp_f32 v13, v13, v25
	v_cndmask_b32_e64 v13, 0, v13, s7
	v_cmp_nlt_f32_e64 s7, 0x42b17218, v12
	s_delay_alu instid0(VALU_DEP_1) | instskip(NEXT) | instid1(VALU_DEP_1)
	v_cndmask_b32_e64 v12, 0x7f800000, v13, s7
	v_add_f32_e32 v22, v12, v22
	global_store_b32 v[10:11], v12, off
	s_wait_xcnt 0x0
	s_or_b32 exec_lo, exec_lo, s8
	s_and_saveexec_b32 s7, s6
	s_cbranch_execz .LBB3_63
.LBB3_67:                               ;   in Loop: Header=BB3_53 Depth=2
	s_wait_loadcnt 0x0
	v_sub_f32_e32 v10, v26, v0
	v_lshl_add_u64 v[8:9], v[8:9], 2, s[26:27]
	s_delay_alu instid0(VALU_DEP_2) | instskip(NEXT) | instid1(VALU_DEP_1)
	v_mul_f32_e32 v11, 0x3fb8aa3b, v10
	v_fma_f32 v12, 0x3fb8aa3b, v10, -v11
	v_rndne_f32_e32 v13, v11
	s_delay_alu instid0(VALU_DEP_1) | instskip(SKIP_1) | instid1(VALU_DEP_2)
	v_dual_sub_f32 v11, v11, v13 :: v_dual_fmac_f32 v12, 0x32a5705f, v10
	v_cmp_ngt_f32_e64 s6, 0xc2ce8ed0, v10
	v_add_f32_e32 v11, v11, v12
	v_cvt_i32_f32_e32 v12, v13
	s_delay_alu instid0(VALU_DEP_2) | instskip(SKIP_1) | instid1(TRANS32_DEP_1)
	v_exp_f32_e32 v11, v11
	v_nop
	v_ldexp_f32 v11, v11, v12
	s_delay_alu instid0(VALU_DEP_1) | instskip(SKIP_1) | instid1(VALU_DEP_1)
	v_cndmask_b32_e64 v11, 0, v11, s6
	v_cmp_nlt_f32_e64 s6, 0x42b17218, v10
	v_cndmask_b32_e64 v10, 0x7f800000, v11, s6
	s_delay_alu instid0(VALU_DEP_1)
	v_add_f32_e32 v22, v10, v22
	global_store_b32 v[8:9], v10, off
	s_wait_xcnt 0x0
	s_or_b32 exec_lo, exec_lo, s7
	s_and_saveexec_b32 s6, vcc_lo
	s_cbranch_execz .LBB3_52
.LBB3_68:                               ;   in Loop: Header=BB3_53 Depth=2
	s_wait_loadcnt 0x0
	v_sub_f32_e32 v8, v24, v0
	v_lshl_add_u64 v[6:7], v[6:7], 2, s[26:27]
	s_delay_alu instid0(VALU_DEP_2) | instskip(NEXT) | instid1(VALU_DEP_1)
	v_mul_f32_e32 v9, 0x3fb8aa3b, v8
	v_fma_f32 v10, 0x3fb8aa3b, v8, -v9
	v_rndne_f32_e32 v11, v9
	s_delay_alu instid0(VALU_DEP_1) | instskip(SKIP_1) | instid1(VALU_DEP_4)
	v_sub_f32_e32 v9, v9, v11
	v_cmp_ngt_f32_e32 vcc_lo, 0xc2ce8ed0, v8
	v_fmac_f32_e32 v10, 0x32a5705f, v8
	s_delay_alu instid0(VALU_DEP_1) | instskip(SKIP_1) | instid1(VALU_DEP_2)
	v_add_f32_e32 v9, v9, v10
	v_cvt_i32_f32_e32 v10, v11
	v_exp_f32_e32 v9, v9
	v_nop
	s_delay_alu instid0(TRANS32_DEP_1) | instskip(NEXT) | instid1(VALU_DEP_1)
	v_ldexp_f32 v9, v9, v10
	v_cndmask_b32_e32 v9, 0, v9, vcc_lo
	v_cmp_nlt_f32_e32 vcc_lo, 0x42b17218, v8
	s_delay_alu instid0(VALU_DEP_2) | instskip(NEXT) | instid1(VALU_DEP_1)
	v_cndmask_b32_e32 v8, 0x7f800000, v9, vcc_lo
	v_add_f32_e32 v22, v8, v22
	global_store_b32 v[6:7], v8, off
	s_branch .LBB3_52
.LBB3_69:                               ;   in Loop: Header=BB3_5 Depth=1
	s_or_b32 exec_lo, exec_lo, s44
.LBB3_70:                               ;   in Loop: Header=BB3_5 Depth=1
	s_delay_alu instid0(SALU_CYCLE_1)
	s_or_b32 exec_lo, exec_lo, s43
	ds_bpermute_b32 v0, v17, v22
	s_mov_b32 s43, -1
	s_and_not1_b32 vcc_lo, exec_lo, s31
	s_mov_b32 s44, 0
	s_wait_dscnt 0x0
	v_add_f32_e32 v0, v22, v0
	ds_bpermute_b32 v6, v18, v0
	s_wait_dscnt 0x0
	v_add_f32_e32 v0, v0, v6
	ds_bpermute_b32 v6, v19, v0
	;; [unrolled: 3-line block ×4, first 2 shown]
	s_wait_dscnt 0x0
	v_add_f32_e32 v0, v0, v6
	s_cbranch_vccnz .LBB3_78
; %bb.71:                               ;   in Loop: Header=BB3_5 Depth=1
	s_mov_b32 s42, 0
	s_and_b32 vcc_lo, exec_lo, s34
	s_mov_b32 s6, 0
	s_cbranch_vccz .LBB3_77
; %bb.72:                               ;   in Loop: Header=BB3_5 Depth=1
	s_and_saveexec_b32 s6, s0
; %bb.73:                               ;   in Loop: Header=BB3_5 Depth=1
	ds_store_b32 v15, v0
; %bb.74:                               ;   in Loop: Header=BB3_5 Depth=1
	s_or_b32 exec_lo, exec_lo, s6
	v_mov_b32_e32 v0, 0
	s_wait_storecnt 0x0
	s_wait_loadcnt_dscnt 0x0
	s_barrier_signal -1
	s_barrier_wait -1
	s_and_saveexec_b32 s6, s1
; %bb.75:                               ;   in Loop: Header=BB3_5 Depth=1
	ds_load_b32 v0, v16
; %bb.76:                               ;   in Loop: Header=BB3_5 Depth=1
	s_or_b32 exec_lo, exec_lo, s6
	s_wait_dscnt 0x0
	ds_bpermute_b32 v6, v17, v0
	s_mov_b32 s6, -1
	s_wait_dscnt 0x0
	v_add_f32_e32 v0, v0, v6
	ds_bpermute_b32 v6, v18, v0
	s_wait_dscnt 0x0
	v_add_f32_e32 v0, v0, v6
	ds_bpermute_b32 v6, v19, v0
	;; [unrolled: 3-line block ×4, first 2 shown]
	s_wait_dscnt 0x0
	v_add_f32_e32 v0, v0, v6
.LBB3_77:                               ;   in Loop: Header=BB3_5 Depth=1
	s_mov_b32 s8, -1
	s_mov_b32 s41, 0
	s_and_b32 vcc_lo, exec_lo, s6
	s_cbranch_vccz .LBB3_3
	s_branch .LBB3_79
.LBB3_78:                               ;   in Loop: Header=BB3_5 Depth=1
	s_mov_b32 s8, 0
	s_cbranch_execz .LBB3_3
.LBB3_79:                               ;   in Loop: Header=BB3_5 Depth=1
	s_and_saveexec_b32 s6, s3
	s_cbranch_execz .LBB3_81
; %bb.80:                               ;   in Loop: Header=BB3_5 Depth=1
	global_store_b32 v1, v0, s[16:17]
.LBB3_81:                               ;   in Loop: Header=BB3_5 Depth=1
	s_wait_xcnt 0x0
	s_or_b32 exec_lo, exec_lo, s6
	s_wait_loadcnt 0x0
	s_wait_storecnt 0x0
	s_barrier_signal -1
	s_barrier_wait -1
	s_and_saveexec_b32 s28, s4
	s_cbranch_execz .LBB3_91
; %bb.82:                               ;   in Loop: Header=BB3_5 Depth=1
	global_wb scope:SCOPE_DEV
	s_wait_storecnt 0x0
	s_load_b64 s[6:7], s[18:19], 0x58
	s_mov_b32 s29, exec_lo
	s_mov_b32 s43, exec_lo
	v_mbcnt_lo_u32_b32 v6, s29, 0
                                        ; implicit-def: $vgpr7
	s_wait_kmcnt 0x0
	global_load_b32 v0, v1, s[6:7] offset:40
	s_wait_xcnt 0x0
	v_cmpx_eq_u32_e32 0, v6
	s_cbranch_execz .LBB3_84
; %bb.83:                               ;   in Loop: Header=BB3_5 Depth=1
	s_bcnt1_i32_b32 s29, s29
	s_delay_alu instid0(SALU_CYCLE_1)
	v_mov_b32_e32 v7, s29
	global_atomic_add_u32 v7, v1, v7, s[6:7] offset:32 th:TH_ATOMIC_RETURN scope:SCOPE_DEV
.LBB3_84:                               ;   in Loop: Header=BB3_5 Depth=1
	s_wait_xcnt 0x0
	s_or_b32 exec_lo, exec_lo, s43
	s_wait_loadcnt 0x0
	v_readfirstlane_b32 s29, v7
	s_delay_alu instid0(VALU_DEP_1) | instskip(SKIP_1) | instid1(VALU_DEP_1)
	v_dual_add_nc_u32 v8, -1, v0 :: v_dual_add_nc_u32 v6, s29, v6
	s_mov_b32 s29, exec_lo
	v_and_b32_e32 v7, 0xffff, v6
	s_delay_alu instid0(VALU_DEP_1)
	v_cmpx_eq_u32_e64 v7, v8
	s_cbranch_execz .LBB3_87
; %bb.85:                               ;   in Loop: Header=BB3_5 Depth=1
	s_mov_b32 s43, exec_lo
	s_delay_alu instid0(SALU_CYCLE_1) | instskip(NEXT) | instid1(VALU_DEP_1)
	v_mbcnt_lo_u32_b32 v7, s43, 0
	v_cmp_eq_u32_e32 vcc_lo, 0, v7
	s_and_b32 s44, exec_lo, vcc_lo
	s_delay_alu instid0(SALU_CYCLE_1)
	s_mov_b32 exec_lo, s44
	s_cbranch_execz .LBB3_87
; %bb.86:                               ;   in Loop: Header=BB3_5 Depth=1
	v_sub_nc_u32_e32 v0, 0x10000, v0
	s_bcnt1_i32_b32 s43, s43
	s_delay_alu instid0(VALU_DEP_1) | instid1(SALU_CYCLE_1)
	v_mul_lo_u32 v0, v0, s43
	global_atomic_add_u32 v1, v0, s[6:7] offset:32 scope:SCOPE_DEV
.LBB3_87:                               ;   in Loop: Header=BB3_5 Depth=1
	s_wait_xcnt 0x0
	s_or_b32 exec_lo, exec_lo, s29
	global_load_b32 v7, v1, s[6:7] offset:32 scope:SCOPE_DEV
	v_and_b32_e32 v0, 0xffff0000, v6
	s_wait_loadcnt 0x0
	v_and_b32_e32 v6, 0xffff0000, v7
	s_delay_alu instid0(VALU_DEP_1)
	v_cmp_eq_u32_e32 vcc_lo, v6, v0
	s_wait_xcnt 0x0
	s_and_b32 exec_lo, exec_lo, vcc_lo
	s_cbranch_execz .LBB3_90
; %bb.88:                               ;   in Loop: Header=BB3_5 Depth=1
	s_mov_b32 s29, 0
.LBB3_89:                               ;   Parent Loop BB3_5 Depth=1
                                        ; =>  This Inner Loop Header: Depth=2
	s_sleep 1
	global_load_b32 v6, v1, s[6:7] offset:32 scope:SCOPE_DEV
	s_wait_loadcnt 0x0
	v_and_b32_e32 v6, 0xffff0000, v6
	s_delay_alu instid0(VALU_DEP_1)
	v_cmp_ne_u32_e32 vcc_lo, v6, v0
	s_or_b32 s29, vcc_lo, s29
	s_wait_xcnt 0x0
	s_and_not1_b32 exec_lo, exec_lo, s29
	s_cbranch_execnz .LBB3_89
.LBB3_90:                               ;   in Loop: Header=BB3_5 Depth=1
	s_wait_storecnt 0x0
	global_inv scope:SCOPE_DEV
	s_wait_loadcnt 0x0
.LBB3_91:                               ;   in Loop: Header=BB3_5 Depth=1
	s_or_b32 exec_lo, exec_lo, s28
	v_mov_b32_e32 v0, 0
	s_barrier_signal -1
	s_barrier_wait -1
	s_and_saveexec_b32 s6, s5
	s_cbranch_execz .LBB3_93
; %bb.92:                               ;   in Loop: Header=BB3_5 Depth=1
	global_load_b32 v0, v[4:5], off
.LBB3_93:                               ;   in Loop: Header=BB3_5 Depth=1
	s_wait_xcnt 0x0
	s_or_b32 exec_lo, exec_lo, s6
	s_wait_loadcnt 0x0
	ds_bpermute_b32 v6, v17, v0
	s_mov_b32 s43, -1
	s_and_not1_b32 vcc_lo, exec_lo, s31
	s_mov_b32 s44, 0
	s_wait_dscnt 0x0
	v_add_f32_e32 v0, v0, v6
	ds_bpermute_b32 v6, v18, v0
	s_wait_dscnt 0x0
	v_add_f32_e32 v0, v0, v6
	ds_bpermute_b32 v6, v19, v0
	;; [unrolled: 3-line block ×4, first 2 shown]
	s_wait_dscnt 0x0
	v_add_f32_e32 v0, v0, v6
	s_cbranch_vccnz .LBB3_101
; %bb.94:                               ;   in Loop: Header=BB3_5 Depth=1
	s_mov_b32 s8, 0
	s_and_b32 vcc_lo, exec_lo, s33
	s_mov_b32 s6, 0
	s_cbranch_vccz .LBB3_100
; %bb.95:                               ;   in Loop: Header=BB3_5 Depth=1
	s_and_saveexec_b32 s6, s0
; %bb.96:                               ;   in Loop: Header=BB3_5 Depth=1
	ds_store_b32 v15, v0
; %bb.97:                               ;   in Loop: Header=BB3_5 Depth=1
	s_or_b32 exec_lo, exec_lo, s6
	v_mov_b32_e32 v0, 0
	s_wait_dscnt 0x0
	s_barrier_signal -1
	s_barrier_wait -1
	s_and_saveexec_b32 s6, s1
; %bb.98:                               ;   in Loop: Header=BB3_5 Depth=1
	ds_load_b32 v0, v16
; %bb.99:                               ;   in Loop: Header=BB3_5 Depth=1
	s_or_b32 exec_lo, exec_lo, s6
	s_wait_dscnt 0x0
	ds_bpermute_b32 v6, v17, v0
	s_mov_b32 s6, -1
	s_wait_dscnt 0x0
	v_add_f32_e32 v0, v0, v6
	ds_bpermute_b32 v6, v18, v0
	s_wait_dscnt 0x0
	v_add_f32_e32 v0, v0, v6
	ds_bpermute_b32 v6, v19, v0
	;; [unrolled: 3-line block ×4, first 2 shown]
	s_wait_dscnt 0x0
	v_add_f32_e32 v0, v0, v6
.LBB3_100:                              ;   in Loop: Header=BB3_5 Depth=1
	s_mov_b32 s44, -1
	s_mov_b32 s42, 0
	s_mov_b32 s41, 0
	s_and_b32 vcc_lo, exec_lo, s6
	s_cbranch_vccz .LBB3_4
	s_branch .LBB3_102
.LBB3_101:                              ;   in Loop: Header=BB3_5 Depth=1
	s_cbranch_execz .LBB3_4
.LBB3_102:                              ;   in Loop: Header=BB3_5 Depth=1
	s_and_saveexec_b32 s28, s2
	s_cbranch_execz .LBB3_121
; %bb.103:                              ;   in Loop: Header=BB3_5 Depth=1
	v_mov_b32_e32 v22, v14
	s_mov_b32 s29, 0
	s_branch .LBB3_105
.LBB3_104:                              ;   in Loop: Header=BB3_105 Depth=2
	s_wait_xcnt 0x0
	s_or_b32 exec_lo, exec_lo, s7
	v_dual_add_nc_u32 v6, s39, v22 :: v_dual_add_nc_u32 v22, s37, v22
	s_delay_alu instid0(VALU_DEP_1) | instskip(NEXT) | instid1(VALU_DEP_1)
	v_ashrrev_i32_e32 v7, 31, v6
	v_cmp_le_i64_e32 vcc_lo, s[12:13], v[6:7]
	s_or_b32 s29, vcc_lo, s29
	s_delay_alu instid0(SALU_CYCLE_1)
	s_and_not1_b32 exec_lo, exec_lo, s29
	s_cbranch_execz .LBB3_121
.LBB3_105:                              ;   Parent Loop BB3_5 Depth=1
                                        ; =>  This Inner Loop Header: Depth=2
	s_delay_alu instid0(VALU_DEP_1) | instskip(SKIP_2) | instid1(VALU_DEP_2)
	v_add_nc_u32_e32 v6, s30, v22
	s_wait_loadcnt 0x0
	v_mov_b32_e32 v26, 0xff800000
	v_dual_mov_b32 v24, 0xff800000 :: v_dual_ashrrev_i32 v7, 31, v6
	s_delay_alu instid0(VALU_DEP_1)
	v_cmp_gt_i64_e32 vcc_lo, s[12:13], v[6:7]
	v_lshl_add_u64 v[12:13], v[6:7], 2, s[26:27]
	s_and_saveexec_b32 s6, vcc_lo
	s_cbranch_execz .LBB3_107
; %bb.106:                              ;   in Loop: Header=BB3_105 Depth=2
	global_load_b32 v26, v[12:13], off
.LBB3_107:                              ;   in Loop: Header=BB3_105 Depth=2
	s_wait_xcnt 0x0
	s_or_b32 exec_lo, exec_lo, s6
	v_add_nc_u32_e32 v6, s40, v22
	s_delay_alu instid0(VALU_DEP_1) | instskip(NEXT) | instid1(VALU_DEP_1)
	v_ashrrev_i32_e32 v7, 31, v6
	v_cmp_gt_i64_e64 s8, s[12:13], v[6:7]
	v_lshl_add_u64 v[10:11], v[6:7], 2, s[26:27]
	s_and_saveexec_b32 s6, s8
	s_cbranch_execz .LBB3_109
; %bb.108:                              ;   in Loop: Header=BB3_105 Depth=2
	global_load_b32 v24, v[10:11], off
.LBB3_109:                              ;   in Loop: Header=BB3_105 Depth=2
	s_wait_xcnt 0x0
	s_or_b32 exec_lo, exec_lo, s6
	v_dual_mov_b32 v23, 0xff800000 :: v_dual_add_nc_u32 v6, s36, v22
	v_mov_b32_e32 v25, 0xff800000
	s_delay_alu instid0(VALU_DEP_2) | instskip(NEXT) | instid1(VALU_DEP_1)
	v_ashrrev_i32_e32 v7, 31, v6
	v_cmp_gt_i64_e64 s7, s[12:13], v[6:7]
	v_lshl_add_u64 v[8:9], v[6:7], 2, s[26:27]
	s_and_saveexec_b32 s6, s7
	s_cbranch_execz .LBB3_111
; %bb.110:                              ;   in Loop: Header=BB3_105 Depth=2
	global_load_b32 v25, v[8:9], off
.LBB3_111:                              ;   in Loop: Header=BB3_105 Depth=2
	s_wait_xcnt 0x0
	s_or_b32 exec_lo, exec_lo, s6
	v_add_nc_u32_e32 v6, s38, v22
	s_delay_alu instid0(VALU_DEP_1) | instskip(NEXT) | instid1(VALU_DEP_1)
	v_ashrrev_i32_e32 v7, 31, v6
	v_cmp_gt_i64_e64 s6, s[12:13], v[6:7]
	v_lshl_add_u64 v[6:7], v[6:7], 2, s[26:27]
	s_and_saveexec_b32 s41, s6
	s_cbranch_execnz .LBB3_116
; %bb.112:                              ;   in Loop: Header=BB3_105 Depth=2
	s_or_b32 exec_lo, exec_lo, s41
	s_and_saveexec_b32 s41, vcc_lo
	s_cbranch_execnz .LBB3_117
.LBB3_113:                              ;   in Loop: Header=BB3_105 Depth=2
	s_or_b32 exec_lo, exec_lo, s41
	s_and_saveexec_b32 s41, s8
	s_cbranch_execnz .LBB3_118
.LBB3_114:                              ;   in Loop: Header=BB3_105 Depth=2
	s_or_b32 exec_lo, exec_lo, s41
	s_and_saveexec_b32 s8, s7
	s_cbranch_execnz .LBB3_119
.LBB3_115:                              ;   in Loop: Header=BB3_105 Depth=2
	s_or_b32 exec_lo, exec_lo, s8
	s_and_saveexec_b32 s7, s6
	s_cbranch_execz .LBB3_104
	s_branch .LBB3_120
.LBB3_116:                              ;   in Loop: Header=BB3_105 Depth=2
	global_load_b32 v23, v[6:7], off
	s_wait_xcnt 0x0
	s_or_b32 exec_lo, exec_lo, s41
	s_and_saveexec_b32 s41, vcc_lo
	s_cbranch_execz .LBB3_113
.LBB3_117:                              ;   in Loop: Header=BB3_105 Depth=2
	s_wait_loadcnt 0x0
	v_div_scale_f32 v27, null, v0, v0, v26
	s_delay_alu instid0(VALU_DEP_1) | instskip(SKIP_1) | instid1(TRANS32_DEP_1)
	v_rcp_f32_e32 v28, v27
	v_nop
	v_fma_f32 v29, -v27, v28, 1.0
	s_delay_alu instid0(VALU_DEP_1) | instskip(SKIP_1) | instid1(VALU_DEP_1)
	v_fmac_f32_e32 v28, v29, v28
	v_div_scale_f32 v29, vcc_lo, v26, v0, v26
	v_mul_f32_e32 v30, v29, v28
	s_delay_alu instid0(VALU_DEP_1) | instskip(NEXT) | instid1(VALU_DEP_1)
	v_fma_f32 v31, -v27, v30, v29
	v_fmac_f32_e32 v30, v31, v28
	s_delay_alu instid0(VALU_DEP_1) | instskip(NEXT) | instid1(VALU_DEP_1)
	v_fma_f32 v27, -v27, v30, v29
	v_div_fmas_f32 v27, v27, v28, v30
	s_delay_alu instid0(VALU_DEP_1)
	v_div_fixup_f32 v26, v27, v0, v26
	global_store_b32 v[12:13], v26, off
	s_wait_xcnt 0x0
	s_or_b32 exec_lo, exec_lo, s41
	s_and_saveexec_b32 s41, s8
	s_cbranch_execz .LBB3_114
.LBB3_118:                              ;   in Loop: Header=BB3_105 Depth=2
	s_wait_loadcnt 0x0
	v_div_scale_f32 v12, null, v0, v0, v24
	s_delay_alu instid0(VALU_DEP_1) | instskip(SKIP_1) | instid1(TRANS32_DEP_1)
	v_rcp_f32_e32 v13, v12
	v_nop
	v_fma_f32 v26, -v12, v13, 1.0
	s_delay_alu instid0(VALU_DEP_1) | instskip(SKIP_1) | instid1(VALU_DEP_1)
	v_fmac_f32_e32 v13, v26, v13
	v_div_scale_f32 v26, vcc_lo, v24, v0, v24
	v_mul_f32_e32 v27, v26, v13
	s_delay_alu instid0(VALU_DEP_1) | instskip(NEXT) | instid1(VALU_DEP_1)
	v_fma_f32 v28, -v12, v27, v26
	v_fmac_f32_e32 v27, v28, v13
	s_delay_alu instid0(VALU_DEP_1) | instskip(NEXT) | instid1(VALU_DEP_1)
	v_fma_f32 v12, -v12, v27, v26
	v_div_fmas_f32 v12, v12, v13, v27
	s_delay_alu instid0(VALU_DEP_1)
	v_div_fixup_f32 v12, v12, v0, v24
	global_store_b32 v[10:11], v12, off
	s_wait_xcnt 0x0
	s_or_b32 exec_lo, exec_lo, s41
	s_and_saveexec_b32 s8, s7
	s_cbranch_execz .LBB3_115
.LBB3_119:                              ;   in Loop: Header=BB3_105 Depth=2
	s_wait_loadcnt 0x0
	v_div_scale_f32 v10, null, v0, v0, v25
	s_delay_alu instid0(VALU_DEP_1) | instskip(SKIP_1) | instid1(TRANS32_DEP_1)
	v_rcp_f32_e32 v11, v10
	v_nop
	v_fma_f32 v12, -v10, v11, 1.0
	s_delay_alu instid0(VALU_DEP_1) | instskip(SKIP_1) | instid1(VALU_DEP_1)
	v_fmac_f32_e32 v11, v12, v11
	v_div_scale_f32 v12, vcc_lo, v25, v0, v25
	v_mul_f32_e32 v13, v12, v11
	s_delay_alu instid0(VALU_DEP_1) | instskip(NEXT) | instid1(VALU_DEP_1)
	v_fma_f32 v24, -v10, v13, v12
	v_fmac_f32_e32 v13, v24, v11
	s_delay_alu instid0(VALU_DEP_1) | instskip(NEXT) | instid1(VALU_DEP_1)
	v_fma_f32 v10, -v10, v13, v12
	v_div_fmas_f32 v10, v10, v11, v13
	s_delay_alu instid0(VALU_DEP_1)
	v_div_fixup_f32 v10, v10, v0, v25
	global_store_b32 v[8:9], v10, off
	s_wait_xcnt 0x0
	s_or_b32 exec_lo, exec_lo, s8
	s_and_saveexec_b32 s7, s6
	s_cbranch_execz .LBB3_104
.LBB3_120:                              ;   in Loop: Header=BB3_105 Depth=2
	s_wait_loadcnt 0x0
	v_div_scale_f32 v8, null, v0, v0, v23
	s_delay_alu instid0(VALU_DEP_1) | instskip(SKIP_1) | instid1(TRANS32_DEP_1)
	v_rcp_f32_e32 v9, v8
	v_nop
	v_fma_f32 v10, -v8, v9, 1.0
	s_delay_alu instid0(VALU_DEP_1) | instskip(SKIP_1) | instid1(VALU_DEP_1)
	v_fmac_f32_e32 v9, v10, v9
	v_div_scale_f32 v10, vcc_lo, v23, v0, v23
	v_mul_f32_e32 v11, v10, v9
	s_delay_alu instid0(VALU_DEP_1) | instskip(NEXT) | instid1(VALU_DEP_1)
	v_fma_f32 v12, -v8, v11, v10
	v_fmac_f32_e32 v11, v12, v9
	s_delay_alu instid0(VALU_DEP_1) | instskip(NEXT) | instid1(VALU_DEP_1)
	v_fma_f32 v8, -v8, v11, v10
	v_div_fmas_f32 v8, v8, v9, v11
	s_delay_alu instid0(VALU_DEP_1)
	v_div_fixup_f32 v8, v8, v0, v23
	global_store_b32 v[6:7], v8, off
	s_branch .LBB3_104
.LBB3_121:                              ;   in Loop: Header=BB3_5 Depth=1
	s_or_b32 exec_lo, exec_lo, s28
	s_add_nc_u64 s[24:25], s[24:25], 1
	s_mov_b32 s44, 0
	v_cmp_le_i64_e64 s43, s[10:11], s[24:25]
	s_mov_b32 s8, 0
	s_mov_b32 s42, 0
	;; [unrolled: 1-line block ×3, first 2 shown]
	s_branch .LBB3_4
.LBB3_122:
	s_mov_b32 s1, -1
	s_and_b32 vcc_lo, exec_lo, s9
	s_mov_b32 s0, 0
	s_cbranch_vccz .LBB3_127
; %bb.123:
	s_and_b32 vcc_lo, exec_lo, s1
	s_cbranch_vccnz .LBB3_142
.LBB3_124:
	s_and_not1_b32 vcc_lo, exec_lo, s0
	s_cbranch_vccnz .LBB3_126
.LBB3_125:
	; divergent unreachable
.LBB3_126:
	s_endpgm
.LBB3_127:
	s_xor_b32 s0, s41, -1
	s_delay_alu instid0(SALU_CYCLE_1)
	s_and_b32 vcc_lo, exec_lo, s0
	s_cbranch_vccz .LBB3_132
; %bb.128:
	s_xor_b32 s0, s42, -1
	s_delay_alu instid0(SALU_CYCLE_1)
	s_and_b32 vcc_lo, exec_lo, s0
	s_cbranch_vccz .LBB3_133
; %bb.129:
	;; [unrolled: 5-line block ×3, first 2 shown]
	s_mov_b32 s17, 0
	s_and_b32 vcc_lo, exec_lo, s44
	s_mov_b32 s0, 0
	s_cbranch_vccz .LBB3_135
; %bb.131:
	s_get_pc_i64 s[0:1]
	s_add_nc_u64 s[0:1], s[0:1], .str.2@rel64+4
	s_get_pc_i64 s[2:3]
	s_add_nc_u64 s[2:3], s[2:3], .str.3@rel64+4
	s_get_pc_i64 s[4:5]
	s_add_nc_u64 s[4:5], s[4:5], __PRETTY_FUNCTION__._ZL12block_reduceIL19block_reduce_method1ELj0EfET1_S1_PS1_@rel64+4
	v_dual_mov_b32 v0, s0 :: v_dual_mov_b32 v1, s1
	v_dual_mov_b32 v2, s2 :: v_dual_mov_b32 v3, s3
	;; [unrolled: 1-line block ×3, first 2 shown]
	v_mov_b32_e32 v6, s5
	s_get_pc_i64 s[6:7]
	s_add_nc_u64 s[6:7], s[6:7], __assert_fail@rel64+4
	s_mov_b64 s[8:9], s[18:19]
	s_swap_pc_i64 s[30:31], s[6:7]
	s_mov_b32 s0, -1
	s_branch .LBB3_135
.LBB3_132:
	s_mov_b32 s0, 0
	s_and_b32 vcc_lo, exec_lo, s1
	s_cbranch_vccnz .LBB3_140
	s_branch .LBB3_141
.LBB3_133:
	s_mov_b32 s0, 0
	s_and_b32 vcc_lo, exec_lo, s1
	s_cbranch_vccnz .LBB3_138
	s_branch .LBB3_139
.LBB3_134:
	s_mov_b32 s17, -1
	s_mov_b32 s0, 0
.LBB3_135:
	s_and_b32 vcc_lo, exec_lo, s17
	s_cbranch_vccz .LBB3_137
; %bb.136:
	s_get_pc_i64 s[0:1]
	s_add_nc_u64 s[0:1], s[0:1], .str.2@rel64+4
	s_get_pc_i64 s[2:3]
	s_add_nc_u64 s[2:3], s[2:3], .str.3@rel64+4
	s_get_pc_i64 s[4:5]
	s_add_nc_u64 s[4:5], s[4:5], __PRETTY_FUNCTION__._ZL12block_reduceIL19block_reduce_method1ELj0EfET1_S1_PS1_@rel64+4
	v_dual_mov_b32 v0, s0 :: v_dual_mov_b32 v1, s1
	v_dual_mov_b32 v2, s2 :: v_dual_mov_b32 v3, s3
	;; [unrolled: 1-line block ×3, first 2 shown]
	v_mov_b32_e32 v6, s5
	s_get_pc_i64 s[6:7]
	s_add_nc_u64 s[6:7], s[6:7], __assert_fail@rel64+4
	s_mov_b64 s[8:9], s[18:19]
	s_swap_pc_i64 s[30:31], s[6:7]
	s_mov_b32 s0, -1
.LBB3_137:
	s_branch .LBB3_139
.LBB3_138:
	s_get_pc_i64 s[0:1]
	s_add_nc_u64 s[0:1], s[0:1], .str.2@rel64+4
	s_get_pc_i64 s[2:3]
	s_add_nc_u64 s[2:3], s[2:3], .str.3@rel64+4
	s_get_pc_i64 s[4:5]
	s_add_nc_u64 s[4:5], s[4:5], __PRETTY_FUNCTION__._ZL12block_reduceIL19block_reduce_method0ELj0EfET1_S1_PS1_@rel64+4
	v_dual_mov_b32 v0, s0 :: v_dual_mov_b32 v1, s1
	v_dual_mov_b32 v2, s2 :: v_dual_mov_b32 v3, s3
	;; [unrolled: 1-line block ×3, first 2 shown]
	v_mov_b32_e32 v6, s5
	s_get_pc_i64 s[6:7]
	s_add_nc_u64 s[6:7], s[6:7], __assert_fail@rel64+4
	s_mov_b64 s[8:9], s[18:19]
	s_swap_pc_i64 s[30:31], s[6:7]
	s_mov_b32 s0, -1
.LBB3_139:
	s_branch .LBB3_141
.LBB3_140:
	s_get_pc_i64 s[0:1]
	s_add_nc_u64 s[0:1], s[0:1], .str@rel64+4
	s_get_pc_i64 s[2:3]
	s_add_nc_u64 s[2:3], s[2:3], .str.1@rel64+4
	s_get_pc_i64 s[4:5]
	s_add_nc_u64 s[4:5], s[4:5], __PRETTY_FUNCTION__._ZL40soft_max_f32_parallelize_cols_single_rowPKfPfS1_S1_15soft_max_params@rel64+4
	v_dual_mov_b32 v0, s0 :: v_dual_mov_b32 v1, s1
	v_dual_mov_b32 v2, s2 :: v_dual_mov_b32 v3, s3
	;; [unrolled: 1-line block ×3, first 2 shown]
	v_mov_b32_e32 v6, s5
	s_get_pc_i64 s[6:7]
	s_add_nc_u64 s[6:7], s[6:7], __assert_fail@rel64+4
	s_mov_b64 s[8:9], s[18:19]
	s_swap_pc_i64 s[30:31], s[6:7]
	s_mov_b32 s0, -1
.LBB3_141:
	s_branch .LBB3_124
.LBB3_142:
	s_get_pc_i64 s[0:1]
	s_add_nc_u64 s[0:1], s[0:1], .str.2@rel64+4
	s_get_pc_i64 s[2:3]
	s_add_nc_u64 s[2:3], s[2:3], .str.3@rel64+4
	s_get_pc_i64 s[4:5]
	s_add_nc_u64 s[4:5], s[4:5], __PRETTY_FUNCTION__._ZL12block_reduceIL19block_reduce_method0ELj0EfET1_S1_PS1_@rel64+4
	v_dual_mov_b32 v0, s0 :: v_dual_mov_b32 v1, s1
	v_dual_mov_b32 v2, s2 :: v_dual_mov_b32 v3, s3
	;; [unrolled: 1-line block ×3, first 2 shown]
	v_mov_b32_e32 v6, s5
	s_get_pc_i64 s[6:7]
	s_add_nc_u64 s[6:7], s[6:7], __assert_fail@rel64+4
	s_mov_b64 s[8:9], s[18:19]
	s_swap_pc_i64 s[30:31], s[6:7]
	s_branch .LBB3_125
	.section	.rodata,"a",@progbits
	.p2align	6, 0x0
	.amdhsa_kernel _ZL29soft_max_f32_parallelize_colsPKfPfS1_S1_15soft_max_params
		.amdhsa_group_segment_fixed_size 128
		.amdhsa_private_segment_fixed_size 64
		.amdhsa_kernarg_size 416
		.amdhsa_user_sgpr_count 2
		.amdhsa_user_sgpr_dispatch_ptr 0
		.amdhsa_user_sgpr_queue_ptr 0
		.amdhsa_user_sgpr_kernarg_segment_ptr 1
		.amdhsa_user_sgpr_dispatch_id 0
		.amdhsa_user_sgpr_kernarg_preload_length 0
		.amdhsa_user_sgpr_kernarg_preload_offset 0
		.amdhsa_user_sgpr_private_segment_size 0
		.amdhsa_wavefront_size32 1
		.amdhsa_uses_dynamic_stack 0
		.amdhsa_enable_private_segment 1
		.amdhsa_system_sgpr_workgroup_id_x 1
		.amdhsa_system_sgpr_workgroup_id_y 0
		.amdhsa_system_sgpr_workgroup_id_z 0
		.amdhsa_system_sgpr_workgroup_info 0
		.amdhsa_system_vgpr_workitem_id 2
		.amdhsa_next_free_vgpr 55
		.amdhsa_next_free_sgpr 46
		.amdhsa_named_barrier_count 0
		.amdhsa_reserve_vcc 1
		.amdhsa_float_round_mode_32 0
		.amdhsa_float_round_mode_16_64 0
		.amdhsa_float_denorm_mode_32 3
		.amdhsa_float_denorm_mode_16_64 3
		.amdhsa_fp16_overflow 0
		.amdhsa_memory_ordered 1
		.amdhsa_forward_progress 1
		.amdhsa_inst_pref_size 46
		.amdhsa_round_robin_scheduling 0
		.amdhsa_exception_fp_ieee_invalid_op 0
		.amdhsa_exception_fp_denorm_src 0
		.amdhsa_exception_fp_ieee_div_zero 0
		.amdhsa_exception_fp_ieee_overflow 0
		.amdhsa_exception_fp_ieee_underflow 0
		.amdhsa_exception_fp_ieee_inexact 0
		.amdhsa_exception_int_div_zero 0
	.end_amdhsa_kernel
	.section	.text._ZL29soft_max_f32_parallelize_colsPKfPfS1_S1_15soft_max_params,"axG",@progbits,_ZL29soft_max_f32_parallelize_colsPKfPfS1_S1_15soft_max_params,comdat
.Lfunc_end3:
	.size	_ZL29soft_max_f32_parallelize_colsPKfPfS1_S1_15soft_max_params, .Lfunc_end3-_ZL29soft_max_f32_parallelize_colsPKfPfS1_S1_15soft_max_params
                                        ; -- End function
	.set _ZL29soft_max_f32_parallelize_colsPKfPfS1_S1_15soft_max_params.num_vgpr, max(32, .L__assert_fail.num_vgpr)
	.set _ZL29soft_max_f32_parallelize_colsPKfPfS1_S1_15soft_max_params.num_agpr, max(0, .L__assert_fail.num_agpr)
	.set _ZL29soft_max_f32_parallelize_colsPKfPfS1_S1_15soft_max_params.numbered_sgpr, max(46, .L__assert_fail.numbered_sgpr)
	.set _ZL29soft_max_f32_parallelize_colsPKfPfS1_S1_15soft_max_params.num_named_barrier, max(0, .L__assert_fail.num_named_barrier)
	.set _ZL29soft_max_f32_parallelize_colsPKfPfS1_S1_15soft_max_params.private_seg_size, 0+max(.L__assert_fail.private_seg_size)
	.set _ZL29soft_max_f32_parallelize_colsPKfPfS1_S1_15soft_max_params.uses_vcc, or(1, .L__assert_fail.uses_vcc)
	.set _ZL29soft_max_f32_parallelize_colsPKfPfS1_S1_15soft_max_params.uses_flat_scratch, or(0, .L__assert_fail.uses_flat_scratch)
	.set _ZL29soft_max_f32_parallelize_colsPKfPfS1_S1_15soft_max_params.has_dyn_sized_stack, or(0, .L__assert_fail.has_dyn_sized_stack)
	.set _ZL29soft_max_f32_parallelize_colsPKfPfS1_S1_15soft_max_params.has_recursion, or(0, .L__assert_fail.has_recursion)
	.set _ZL29soft_max_f32_parallelize_colsPKfPfS1_S1_15soft_max_params.has_indirect_call, or(0, .L__assert_fail.has_indirect_call)
	.section	.AMDGPU.csdata,"",@progbits
; Kernel info:
; codeLenInByte = 5820
; TotalNumSgprs: 48
; NumVgprs: 55
; ScratchSize: 64
; MemoryBound: 0
; FloatMode: 240
; IeeeMode: 1
; LDSByteSize: 128 bytes/workgroup (compile time only)
; SGPRBlocks: 0
; VGPRBlocks: 3
; NumSGPRsForWavesPerEU: 48
; NumVGPRsForWavesPerEU: 55
; NamedBarCnt: 0
; Occupancy: 16
; WaveLimiterHint : 1
; COMPUTE_PGM_RSRC2:SCRATCH_EN: 1
; COMPUTE_PGM_RSRC2:USER_SGPR: 2
; COMPUTE_PGM_RSRC2:TRAP_HANDLER: 0
; COMPUTE_PGM_RSRC2:TGID_X_EN: 1
; COMPUTE_PGM_RSRC2:TGID_Y_EN: 0
; COMPUTE_PGM_RSRC2:TGID_Z_EN: 0
; COMPUTE_PGM_RSRC2:TIDIG_COMP_CNT: 2
	.section	.text._ZL12soft_max_f32ILb1ELi4096ELi1024E6__halfEvPKfPKT2_S2_Pf15soft_max_params,"axG",@progbits,_ZL12soft_max_f32ILb1ELi4096ELi1024E6__halfEvPKfPKT2_S2_Pf15soft_max_params,comdat
	.globl	_ZL12soft_max_f32ILb1ELi4096ELi1024E6__halfEvPKfPKT2_S2_Pf15soft_max_params ; -- Begin function _ZL12soft_max_f32ILb1ELi4096ELi1024E6__halfEvPKfPKT2_S2_Pf15soft_max_params
	.p2align	8
	.type	_ZL12soft_max_f32ILb1ELi4096ELi1024E6__halfEvPKfPKT2_S2_Pf15soft_max_params,@function
_ZL12soft_max_f32ILb1ELi4096ELi1024E6__halfEvPKfPKT2_S2_Pf15soft_max_params: ; @_ZL12soft_max_f32ILb1ELi4096ELi1024E6__halfEvPKfPKT2_S2_Pf15soft_max_params
; %bb.0:
	s_clause 0x1
	s_load_b256 s[4:11], s[0:1], 0x68
	s_load_b64 s[12:13], s[0:1], 0x88
	s_bfe_u32 s2, ttmp6, 0x40010
	s_and_b32 s3, ttmp7, 0xffff
	s_add_co_i32 s2, s2, 1
	s_bfe_u32 s14, ttmp6, 0x40004
	s_mul_i32 s2, s3, s2
	s_getreg_b32 s28, hwreg(HW_REG_IB_STS2, 6, 4)
	s_add_co_i32 s14, s14, s2
	s_cmp_eq_u32 s28, 0
	s_cselect_b32 s2, s3, s14
	s_mov_b32 s3, 0
	s_wait_kmcnt 0x0
	s_and_b64 s[14:15], s[10:11], 0xffffffff00000000
	s_delay_alu instid0(SALU_CYCLE_1)
	s_cmp_lg_u64 s[14:15], 0
	s_cbranch_scc0 .LBB4_10
; %bb.1:
	s_ashr_i32 s14, s11, 31
	s_mov_b32 s21, s3
	s_mov_b32 s15, s14
	;; [unrolled: 1-line block ×3, first 2 shown]
	s_add_nc_u64 s[16:17], s[10:11], s[14:15]
	s_delay_alu instid0(SALU_CYCLE_1) | instskip(NEXT) | instid1(SALU_CYCLE_1)
	s_xor_b64 s[14:15], s[16:17], s[14:15]
	s_cvt_f32_u32 s11, s14
	s_cvt_f32_u32 s16, s15
	s_sub_nc_u64 s[18:19], 0, s[14:15]
	s_delay_alu instid0(SALU_CYCLE_2) | instskip(NEXT) | instid1(SALU_CYCLE_3)
	s_fmamk_f32 s11, s16, 0x4f800000, s11
	v_s_rcp_f32 s11, s11
	s_delay_alu instid0(TRANS32_DEP_1) | instskip(NEXT) | instid1(SALU_CYCLE_3)
	s_mul_f32 s11, s11, 0x5f7ffffc
	s_mul_f32 s16, s11, 0x2f800000
	s_delay_alu instid0(SALU_CYCLE_3) | instskip(NEXT) | instid1(SALU_CYCLE_3)
	s_trunc_f32 s16, s16
	s_fmamk_f32 s11, s16, 0xcf800000, s11
	s_cvt_u32_f32 s17, s16
	s_delay_alu instid0(SALU_CYCLE_2) | instskip(NEXT) | instid1(SALU_CYCLE_3)
	s_cvt_u32_f32 s16, s11
	s_mul_u64 s[22:23], s[18:19], s[16:17]
	s_delay_alu instid0(SALU_CYCLE_1)
	s_mul_hi_u32 s27, s16, s23
	s_mul_i32 s26, s16, s23
	s_mul_hi_u32 s20, s16, s22
	s_mul_i32 s24, s17, s22
	s_add_nc_u64 s[20:21], s[20:21], s[26:27]
	s_mul_hi_u32 s11, s17, s22
	s_mul_hi_u32 s29, s17, s23
	s_add_co_u32 s20, s20, s24
	s_add_co_ci_u32 s24, s21, s11
	s_mul_i32 s22, s17, s23
	s_add_co_ci_u32 s23, s29, 0
	s_delay_alu instid0(SALU_CYCLE_1) | instskip(SKIP_3) | instid1(SALU_CYCLE_1)
	s_add_nc_u64 s[20:21], s[24:25], s[22:23]
	s_mov_b32 s23, s3
	s_add_co_u32 s16, s16, s20
	s_cselect_b32 s11, -1, 0
	s_cmp_lg_u32 s11, 0
	s_add_co_ci_u32 s17, s17, s21
	s_mov_b32 s21, s3
	s_mul_u64 s[18:19], s[18:19], s[16:17]
	s_delay_alu instid0(SALU_CYCLE_1)
	s_mul_hi_u32 s25, s16, s19
	s_mul_i32 s24, s16, s19
	s_mul_hi_u32 s20, s16, s18
	s_mul_i32 s22, s17, s18
	s_add_nc_u64 s[20:21], s[20:21], s[24:25]
	s_mul_hi_u32 s11, s17, s18
	s_mul_hi_u32 s26, s17, s19
	s_mul_i32 s18, s17, s19
	s_add_co_u32 s19, s20, s22
	s_add_co_ci_u32 s22, s21, s11
	s_add_co_ci_u32 s19, s26, 0
	s_add_nc_u64 s[20:21], s[2:3], 0
	s_add_nc_u64 s[18:19], s[22:23], s[18:19]
	s_delay_alu instid0(SALU_CYCLE_1) | instskip(SKIP_1) | instid1(SALU_CYCLE_1)
	s_add_co_u32 s11, s16, s18
	s_cselect_b32 s16, -1, 0
	s_cmp_lg_u32 s16, 0
	s_add_co_ci_u32 s18, s17, s19
	s_xor_b64 s[16:17], s[20:21], 0
	s_mov_b32 s19, s3
	s_mul_hi_u32 s21, s16, s18
	s_mul_i32 s20, s16, s18
	s_mul_hi_u32 s22, s16, s11
	s_mul_hi_u32 s25, s17, s11
	s_mul_i32 s11, s17, s11
	s_add_nc_u64 s[20:21], s[22:23], s[20:21]
	s_mul_hi_u32 s24, s17, s18
	s_add_co_u32 s11, s20, s11
	s_mul_i32 s22, s17, s18
	s_add_co_ci_u32 s18, s21, s25
	s_add_co_ci_u32 s23, s24, 0
	s_delay_alu instid0(SALU_CYCLE_1) | instskip(NEXT) | instid1(SALU_CYCLE_1)
	s_add_nc_u64 s[18:19], s[18:19], s[22:23]
	s_and_b64 s[20:21], s[18:19], 0xffffffff00000000
	s_delay_alu instid0(SALU_CYCLE_1) | instskip(NEXT) | instid1(SALU_CYCLE_1)
	s_or_b32 s20, s20, s18
	s_mul_u64 s[18:19], s[14:15], s[20:21]
	s_delay_alu instid0(SALU_CYCLE_1)
	s_sub_co_u32 s11, s16, s18
	s_cselect_b32 s16, -1, 0
	s_sub_co_i32 s18, s17, s19
	s_cmp_lg_u32 s16, 0
	s_sub_co_ci_u32 s18, s18, s15
	s_sub_co_u32 s20, s11, s14
	s_cselect_b32 s21, -1, 0
	s_delay_alu instid0(SALU_CYCLE_1) | instskip(SKIP_1) | instid1(SALU_CYCLE_1)
	s_cmp_lg_u32 s21, 0
	s_sub_co_ci_u32 s22, s18, 0
	s_cmp_ge_u32 s22, s15
	s_cselect_b32 s23, -1, 0
	s_cmp_ge_u32 s20, s14
	s_cselect_b32 s24, -1, 0
	s_cmp_eq_u32 s22, s15
	s_cselect_b32 s23, s24, s23
	s_cmp_lg_u32 s21, 0
	s_sub_co_ci_u32 s18, s18, s15
	s_sub_co_u32 s21, s20, s14
	s_cselect_b32 s24, -1, 0
	s_delay_alu instid0(SALU_CYCLE_1)
	s_cmp_lg_u32 s24, 0
	s_sub_co_ci_u32 s18, s18, 0
	s_cmp_lg_u32 s23, 0
	s_cselect_b32 s20, s21, s20
	s_cselect_b32 s18, s18, s22
	s_cmp_lg_u32 s16, 0
	s_sub_co_ci_u32 s16, s17, s19
	s_delay_alu instid0(SALU_CYCLE_1)
	s_cmp_ge_u32 s16, s15
	s_cselect_b32 s17, -1, 0
	s_cmp_ge_u32 s11, s14
	s_cselect_b32 s14, -1, 0
	s_cmp_eq_u32 s16, s15
	s_cselect_b32 s14, s14, s17
	s_delay_alu instid0(SALU_CYCLE_1) | instskip(SKIP_2) | instid1(SALU_CYCLE_1)
	s_cmp_lg_u32 s14, 0
	s_cselect_b32 s15, s18, s16
	s_cselect_b32 s14, s20, s11
	s_xor_b64 s[14:15], s[14:15], 0
	s_delay_alu instid0(SALU_CYCLE_1)
	s_sub_nc_u64 s[20:21], s[14:15], 0
	s_and_not1_b32 vcc_lo, exec_lo, s3
	s_cbranch_vccnz .LBB4_3
.LBB4_2:
	v_cvt_f32_u32_e32 v1, s10
	s_sub_co_i32 s11, 0, s10
	s_mov_b32 s21, 0
	s_delay_alu instid0(VALU_DEP_1) | instskip(SKIP_1) | instid1(TRANS32_DEP_1)
	v_rcp_iflag_f32_e32 v1, v1
	v_nop
	v_mul_f32_e32 v1, 0x4f7ffffe, v1
	s_delay_alu instid0(VALU_DEP_1) | instskip(NEXT) | instid1(VALU_DEP_1)
	v_cvt_u32_f32_e32 v1, v1
	v_readfirstlane_b32 s3, v1
	s_mul_i32 s11, s11, s3
	s_delay_alu instid0(SALU_CYCLE_1) | instskip(NEXT) | instid1(SALU_CYCLE_1)
	s_mul_hi_u32 s11, s3, s11
	s_add_co_i32 s3, s3, s11
	s_delay_alu instid0(SALU_CYCLE_1) | instskip(NEXT) | instid1(SALU_CYCLE_1)
	s_mul_hi_u32 s3, s2, s3
	s_mul_i32 s3, s3, s10
	s_delay_alu instid0(SALU_CYCLE_1) | instskip(NEXT) | instid1(SALU_CYCLE_1)
	s_sub_co_i32 s3, s2, s3
	s_sub_co_i32 s11, s3, s10
	s_cmp_ge_u32 s3, s10
	s_cselect_b32 s3, s11, s3
	s_delay_alu instid0(SALU_CYCLE_1)
	s_sub_co_i32 s11, s3, s10
	s_cmp_ge_u32 s3, s10
	s_cselect_b32 s20, s11, s3
.LBB4_3:
	s_load_b64 s[10:11], s[0:1], 0x90
	s_bfe_u32 s3, ttmp6, 0x40014
	s_lshr_b32 s14, ttmp7, 16
	s_add_co_i32 s3, s3, 1
	s_bfe_u32 s15, ttmp6, 0x40008
	s_mul_i32 s3, s14, s3
	s_mov_b32 s23, 0
	s_add_co_i32 s15, s15, s3
	s_cmp_eq_u32 s28, 0
	s_cselect_b32 s22, s14, s15
	s_and_b64 s[14:15], s[12:13], 0xffffffff00000000
	s_delay_alu instid0(SALU_CYCLE_1)
	s_cmp_lg_u64 s[14:15], 0
	s_cbranch_scc0 .LBB4_11
; %bb.4:
	s_ashr_i32 s14, s13, 31
	s_mov_b32 s25, s23
	s_mov_b32 s15, s14
	;; [unrolled: 1-line block ×3, first 2 shown]
	s_add_nc_u64 s[16:17], s[12:13], s[14:15]
	s_delay_alu instid0(SALU_CYCLE_1) | instskip(NEXT) | instid1(SALU_CYCLE_1)
	s_xor_b64 s[14:15], s[16:17], s[14:15]
	s_cvt_f32_u32 s3, s14
	s_cvt_f32_u32 s13, s15
	s_sub_nc_u64 s[18:19], 0, s[14:15]
	s_delay_alu instid0(SALU_CYCLE_2) | instskip(NEXT) | instid1(SALU_CYCLE_3)
	s_fmamk_f32 s3, s13, 0x4f800000, s3
	v_s_rcp_f32 s3, s3
	s_delay_alu instid0(TRANS32_DEP_1) | instskip(NEXT) | instid1(SALU_CYCLE_3)
	s_mul_f32 s3, s3, 0x5f7ffffc
	s_mul_f32 s13, s3, 0x2f800000
	s_delay_alu instid0(SALU_CYCLE_3) | instskip(NEXT) | instid1(SALU_CYCLE_3)
	s_trunc_f32 s13, s13
	s_fmamk_f32 s3, s13, 0xcf800000, s3
	s_cvt_u32_f32 s17, s13
	s_delay_alu instid0(SALU_CYCLE_2) | instskip(NEXT) | instid1(SALU_CYCLE_3)
	s_cvt_u32_f32 s16, s3
	s_mul_u64 s[26:27], s[18:19], s[16:17]
	s_delay_alu instid0(SALU_CYCLE_1)
	s_mul_hi_u32 s35, s16, s27
	s_mul_i32 s34, s16, s27
	s_mul_hi_u32 s24, s16, s26
	s_mul_i32 s13, s17, s26
	s_add_nc_u64 s[24:25], s[24:25], s[34:35]
	s_mul_hi_u32 s3, s17, s26
	s_mul_hi_u32 s29, s17, s27
	s_add_co_u32 s13, s24, s13
	s_add_co_ci_u32 s30, s25, s3
	s_mul_i32 s26, s17, s27
	s_add_co_ci_u32 s27, s29, 0
	s_delay_alu instid0(SALU_CYCLE_1) | instskip(SKIP_3) | instid1(SALU_CYCLE_1)
	s_add_nc_u64 s[24:25], s[30:31], s[26:27]
	s_mov_b32 s27, s23
	s_add_co_u32 s16, s16, s24
	s_cselect_b32 s3, -1, 0
	s_cmp_lg_u32 s3, 0
	s_add_co_ci_u32 s17, s17, s25
	s_mov_b32 s25, s23
	s_mul_u64 s[18:19], s[18:19], s[16:17]
	s_delay_alu instid0(SALU_CYCLE_1)
	s_mul_hi_u32 s31, s16, s19
	s_mul_i32 s30, s16, s19
	s_mul_hi_u32 s24, s16, s18
	s_mul_i32 s13, s17, s18
	s_add_nc_u64 s[24:25], s[24:25], s[30:31]
	s_mul_hi_u32 s3, s17, s18
	s_mul_hi_u32 s29, s17, s19
	s_add_co_u32 s13, s24, s13
	s_add_co_ci_u32 s26, s25, s3
	s_mul_i32 s18, s17, s19
	s_add_co_ci_u32 s19, s29, 0
	s_add_nc_u64 s[24:25], s[22:23], 0
	s_add_nc_u64 s[18:19], s[26:27], s[18:19]
	s_delay_alu instid0(SALU_CYCLE_1) | instskip(SKIP_1) | instid1(SALU_CYCLE_1)
	s_add_co_u32 s3, s16, s18
	s_cselect_b32 s13, -1, 0
	s_cmp_lg_u32 s13, 0
	s_add_co_ci_u32 s13, s17, s19
	s_xor_b64 s[16:17], s[24:25], 0
	s_mov_b32 s19, s23
	s_mul_hi_u32 s25, s16, s13
	s_mul_i32 s24, s16, s13
	s_mul_hi_u32 s26, s16, s3
	s_mul_hi_u32 s18, s17, s3
	s_mul_i32 s3, s17, s3
	s_add_nc_u64 s[24:25], s[26:27], s[24:25]
	s_mul_hi_u32 s29, s17, s13
	s_add_co_u32 s3, s24, s3
	s_add_co_ci_u32 s18, s25, s18
	s_mul_i32 s26, s17, s13
	s_add_co_ci_u32 s27, s29, 0
	s_delay_alu instid0(SALU_CYCLE_1) | instskip(NEXT) | instid1(SALU_CYCLE_1)
	s_add_nc_u64 s[18:19], s[18:19], s[26:27]
	s_and_b64 s[24:25], s[18:19], 0xffffffff00000000
	s_delay_alu instid0(SALU_CYCLE_1) | instskip(NEXT) | instid1(SALU_CYCLE_1)
	s_or_b32 s24, s24, s18
	s_mul_u64 s[18:19], s[14:15], s[24:25]
	s_delay_alu instid0(SALU_CYCLE_1)
	s_sub_co_u32 s3, s16, s18
	s_cselect_b32 s13, -1, 0
	s_sub_co_i32 s16, s17, s19
	s_cmp_lg_u32 s13, 0
	s_sub_co_ci_u32 s16, s16, s15
	s_sub_co_u32 s18, s3, s14
	s_cselect_b32 s24, -1, 0
	s_delay_alu instid0(SALU_CYCLE_1) | instskip(SKIP_1) | instid1(SALU_CYCLE_1)
	s_cmp_lg_u32 s24, 0
	s_sub_co_ci_u32 s25, s16, 0
	s_cmp_ge_u32 s25, s15
	s_cselect_b32 s26, -1, 0
	s_cmp_ge_u32 s18, s14
	s_cselect_b32 s27, -1, 0
	s_cmp_eq_u32 s25, s15
	s_cselect_b32 s26, s27, s26
	s_cmp_lg_u32 s24, 0
	s_sub_co_ci_u32 s16, s16, s15
	s_sub_co_u32 s24, s18, s14
	s_cselect_b32 s27, -1, 0
	s_delay_alu instid0(SALU_CYCLE_1)
	s_cmp_lg_u32 s27, 0
	s_sub_co_ci_u32 s16, s16, 0
	s_cmp_lg_u32 s26, 0
	s_cselect_b32 s18, s24, s18
	s_cselect_b32 s16, s16, s25
	s_cmp_lg_u32 s13, 0
	s_sub_co_ci_u32 s13, s17, s19
	s_delay_alu instid0(SALU_CYCLE_1)
	s_cmp_ge_u32 s13, s15
	s_cselect_b32 s17, -1, 0
	s_cmp_ge_u32 s3, s14
	s_cselect_b32 s14, -1, 0
	s_cmp_eq_u32 s13, s15
	s_cselect_b32 s14, s14, s17
	s_delay_alu instid0(SALU_CYCLE_1) | instskip(SKIP_2) | instid1(SALU_CYCLE_1)
	s_cmp_lg_u32 s14, 0
	s_cselect_b32 s15, s16, s13
	s_cselect_b32 s14, s18, s3
	s_xor_b64 s[14:15], s[14:15], 0
	s_delay_alu instid0(SALU_CYCLE_1)
	s_sub_nc_u64 s[24:25], s[14:15], 0
	s_and_not1_b32 vcc_lo, exec_lo, s23
	s_cbranch_vccnz .LBB4_6
.LBB4_5:
	v_cvt_f32_u32_e32 v1, s12
	s_sub_co_i32 s13, 0, s12
	s_mov_b32 s25, 0
	s_delay_alu instid0(VALU_DEP_1) | instskip(SKIP_1) | instid1(TRANS32_DEP_1)
	v_rcp_iflag_f32_e32 v1, v1
	v_nop
	v_mul_f32_e32 v1, 0x4f7ffffe, v1
	s_delay_alu instid0(VALU_DEP_1) | instskip(NEXT) | instid1(VALU_DEP_1)
	v_cvt_u32_f32_e32 v1, v1
	v_readfirstlane_b32 s3, v1
	s_mul_i32 s13, s13, s3
	s_delay_alu instid0(SALU_CYCLE_1) | instskip(NEXT) | instid1(SALU_CYCLE_1)
	s_mul_hi_u32 s13, s3, s13
	s_add_co_i32 s3, s3, s13
	s_delay_alu instid0(SALU_CYCLE_1) | instskip(NEXT) | instid1(SALU_CYCLE_1)
	s_mul_hi_u32 s3, s22, s3
	s_mul_i32 s3, s3, s12
	s_delay_alu instid0(SALU_CYCLE_1) | instskip(NEXT) | instid1(SALU_CYCLE_1)
	s_sub_co_i32 s3, s22, s3
	s_sub_co_i32 s13, s3, s12
	s_cmp_ge_u32 s3, s12
	s_cselect_b32 s3, s13, s3
	s_delay_alu instid0(SALU_CYCLE_1)
	s_sub_co_i32 s13, s3, s12
	s_cmp_ge_u32 s3, s12
	s_cselect_b32 s24, s13, s3
.LBB4_6:
	s_load_b64 s[26:27], s[0:1], 0xa0
	v_mov_b32_e32 v6, 1.0
	s_wait_kmcnt 0x0
	s_cmp_le_f32 s11, 0
	s_cbranch_scc1 .LBB4_8
; %bb.7:
	s_clause 0x1
	s_load_b32 s3, s[0:1], 0x28
	s_load_b64 s[12:13], s[0:1], 0x98
	s_add_co_i32 s14, s2, 1
	s_wait_kmcnt 0x0
	s_sub_co_i32 s11, s2, s3
	s_delay_alu instid0(SALU_CYCLE_1) | instskip(NEXT) | instid1(SALU_CYCLE_1)
	s_lshl_b32 s11, s11, 1
	s_or_b32 s11, s11, 1
	s_cmp_lt_u32 s2, s3
	s_cselect_b32 s3, s14, s11
	s_cselect_b32 s12, s12, s13
	s_cvt_f32_i32 s3, s3
	s_cmp_neq_f32 s12, 1.0
	s_delay_alu instid0(SALU_CYCLE_2) | instskip(NEXT) | instid1(SALU_CYCLE_1)
	s_cselect_b32 s11, s3, 1.0
	s_cmp_neq_f32 s11, 0
	s_cselect_b32 s3, s12, 1.0
	s_delay_alu instid0(SALU_CYCLE_1) | instskip(NEXT) | instid1(VALU_DEP_1)
	v_cvt_f64_f32_e64 v[2:3], |s3|
	v_frexp_exp_i32_f64_e32 v1, v[2:3]
	v_frexp_mant_f32_e64 v2, |s3|
	s_delay_alu instid0(VALU_DEP_1) | instskip(SKIP_2) | instid1(SALU_CYCLE_1)
	v_readfirstlane_b32 s12, v2
	s_cmp_lt_f32 s12, 0x3f2aaaab
	s_cselect_b32 vcc_lo, -1, 0
	s_and_b32 s13, vcc_lo, exec_lo
	s_cselect_b32 s13, 2.0, 1.0
	s_delay_alu instid0(SALU_CYCLE_1) | instskip(NEXT) | instid1(SALU_CYCLE_3)
	s_mul_f32 s12, s12, s13
	s_add_f32 s13, s12, 1.0
	s_add_f32 s15, s12, -1.0
	s_delay_alu instid0(SALU_CYCLE_2) | instskip(SKIP_2) | instid1(SALU_CYCLE_2)
	v_s_rcp_f32 s14, s13
	s_add_f32 s18, s13, -1.0
	v_subrev_co_ci_u32_e64 v1, null, 0, v1, vcc_lo
	s_sub_f32 s12, s12, s18
	s_delay_alu instid0(TRANS32_DEP_1) | instskip(SKIP_1) | instid1(SALU_CYCLE_2)
	s_mul_f32 s16, s15, s14
	v_cvt_f32_i32_e32 v1, v1
	s_mul_f32 s17, s13, s16
	s_delay_alu instid0(SALU_CYCLE_3) | instskip(SKIP_1) | instid1(SALU_CYCLE_1)
	v_dual_mov_b32 v3, s15 :: v_dual_mov_b32 v4, s17
	s_xor_b32 s19, s17, 0x80000000
	s_fmac_f32 s19, s16, s13
	s_delay_alu instid0(SALU_CYCLE_3) | instskip(NEXT) | instid1(SALU_CYCLE_3)
	s_fmac_f32 s19, s16, s12
	s_add_f32 s12, s17, s19
	v_mov_b32_e32 v6, s19
	s_mov_b32 s17, 0x3e76c4e1
	s_delay_alu instid0(SALU_CYCLE_1) | instskip(SKIP_1) | instid1(SALU_CYCLE_2)
	s_sub_f32 s13, s15, s12
	v_dual_mov_b32 v2, s12 :: v_dual_mov_b32 v7, s12
	v_mov_b32_e32 v5, s13
	s_delay_alu instid0(VALU_DEP_1) | instskip(NEXT) | instid1(VALU_DEP_1)
	v_pk_add_f32 v[2:3], v[2:3], v[4:5] neg_lo:[0,1] neg_hi:[0,1]
	v_pk_add_f32 v[2:3], v[2:3], v[6:7] neg_lo:[0,1] neg_hi:[0,1]
	s_delay_alu instid0(VALU_DEP_1) | instskip(NEXT) | instid1(VALU_DEP_2)
	v_readfirstlane_b32 s12, v3
	v_readfirstlane_b32 s15, v2
	s_add_f32 s12, s15, s12
	s_delay_alu instid0(SALU_CYCLE_3) | instskip(NEXT) | instid1(SALU_CYCLE_3)
	s_add_f32 s12, s13, s12
	s_mul_f32 s13, s14, s12
	s_delay_alu instid0(SALU_CYCLE_3) | instskip(NEXT) | instid1(SALU_CYCLE_3)
	s_add_f32 s12, s16, s13
	s_sub_f32 s14, s12, s16
	s_mul_f32 s15, s12, s12
	s_delay_alu instid0(SALU_CYCLE_2) | instskip(NEXT) | instid1(SALU_CYCLE_2)
	s_sub_f32 s16, s13, s14
	s_xor_b32 s13, s15, 0x80000000
	s_delay_alu instid0(SALU_CYCLE_1) | instskip(NEXT) | instid1(SALU_CYCLE_1)
	s_fmac_f32 s13, s12, s12
	s_add_f32 s14, s16, s16
	s_delay_alu instid0(SALU_CYCLE_3) | instskip(NEXT) | instid1(SALU_CYCLE_3)
	s_fmac_f32 s13, s12, s14
	s_add_f32 s14, s15, s13
	s_delay_alu instid0(SALU_CYCLE_3) | instskip(SKIP_1) | instid1(SALU_CYCLE_2)
	s_fmaak_f32 s17, s14, s17, 0x3e91f4c4
	s_sub_f32 s15, s14, s15
	s_fmaak_f32 s17, s14, s17, 0x3ecccdef
	s_delay_alu instid0(SALU_CYCLE_2) | instskip(NEXT) | instid1(SALU_CYCLE_2)
	s_sub_f32 s23, s13, s15
	s_mul_f32 s18, s14, s17
	s_delay_alu instid0(SALU_CYCLE_3) | instskip(NEXT) | instid1(SALU_CYCLE_1)
	s_xor_b32 s19, s18, 0x80000000
	s_fmac_f32 s19, s14, s17
	s_delay_alu instid0(SALU_CYCLE_3) | instskip(NEXT) | instid1(SALU_CYCLE_3)
	s_fmac_f32 s19, s23, s17
	s_add_f32 s15, s18, s19
	s_delay_alu instid0(SALU_CYCLE_3) | instskip(SKIP_1) | instid1(SALU_CYCLE_2)
	s_sub_f32 s13, s15, s18
	s_add_f32 s17, s15, 0x3f2aaaaa
	s_sub_f32 s13, s19, s13
	s_delay_alu instid0(SALU_CYCLE_2) | instskip(NEXT) | instid1(SALU_CYCLE_2)
	s_add_f32 s18, s17, 0xbf2aaaaa
	s_add_f32 s13, s13, 0x31739010
	s_delay_alu instid0(SALU_CYCLE_2) | instskip(NEXT) | instid1(SALU_CYCLE_2)
	s_sub_f32 s15, s15, s18
	v_mov_b64_e32 v[2:3], s[12:13]
	s_delay_alu instid0(SALU_CYCLE_2) | instskip(NEXT) | instid1(VALU_DEP_1)
	v_mov_b64_e32 v[4:5], s[14:15]
	v_pk_mul_f32 v[6:7], v[2:3], v[4:5]
	v_pk_add_f32 v[2:3], v[2:3], v[4:5]
	v_mov_b32_e32 v9, s17
	s_delay_alu instid0(VALU_DEP_3) | instskip(NEXT) | instid1(VALU_DEP_3)
	v_xor_b32_e32 v8, 0x80000000, v6
	v_mov_b32_e32 v7, v3
	s_delay_alu instid0(VALU_DEP_2) | instskip(NEXT) | instid1(VALU_DEP_1)
	v_fmac_f32_e64 v8, s14, s12
	v_fmac_f32_e64 v8, s14, s16
	s_delay_alu instid0(VALU_DEP_1) | instskip(NEXT) | instid1(VALU_DEP_1)
	v_fmac_f32_e64 v8, s23, s12
	v_pk_add_f32 v[4:5], v[6:7], v[8:9]
	s_delay_alu instid0(VALU_DEP_1) | instskip(SKIP_1) | instid1(VALU_DEP_2)
	v_dual_mov_b32 v2, v5 :: v_dual_sub_f32 v7, s17, v5
	v_mul_f32_e32 v12, 0x3f317218, v1
	v_pk_mul_f32 v[10:11], v[4:5], v[2:3]
	s_delay_alu instid0(VALU_DEP_3) | instskip(NEXT) | instid1(VALU_DEP_3)
	v_add_f32_e32 v3, v3, v7
	v_xor_b32_e32 v7, 0x80000000, v12
	s_delay_alu instid0(VALU_DEP_3) | instskip(NEXT) | instid1(VALU_DEP_2)
	v_xor_b32_e32 v2, 0x80000000, v10
	v_dual_sub_f32 v6, v4, v6 :: v_dual_fmac_f32 v7, 0x3f317218, v1
	s_delay_alu instid0(VALU_DEP_2) | instskip(NEXT) | instid1(VALU_DEP_2)
	v_fmac_f32_e32 v2, v4, v5
	v_sub_f32_e32 v6, v8, v6
	s_delay_alu instid0(VALU_DEP_2) | instskip(NEXT) | instid1(VALU_DEP_1)
	v_fmac_f32_e32 v2, v4, v3
	v_fmac_f32_e32 v2, v6, v5
	v_fmamk_f32 v4, v1, 0xb102e308, v7
	v_ldexp_f32 v5, s12, 1
	v_ldexp_f32 v1, s16, 1
	s_delay_alu instid0(VALU_DEP_2) | instskip(NEXT) | instid1(VALU_DEP_1)
	v_dual_add_f32 v13, v10, v2 :: v_dual_mov_b32 v11, v5
	v_pk_add_f32 v[6:7], v[12:13], v[4:5]
	v_dual_mov_b32 v8, v13 :: v_dual_mov_b32 v3, v13
	s_delay_alu instid0(VALU_DEP_2) | instskip(SKIP_1) | instid1(VALU_DEP_2)
	v_dual_mov_b32 v9, v7 :: v_dual_mov_b32 v5, v6
	v_mov_b32_e32 v14, v7
	v_pk_add_f32 v[8:9], v[8:9], v[10:11] neg_lo:[0,1] neg_hi:[0,1]
	s_delay_alu instid0(VALU_DEP_1) | instskip(NEXT) | instid1(VALU_DEP_1)
	v_pk_add_f32 v[2:3], v[2:3], v[8:9] neg_lo:[0,1] neg_hi:[0,1]
	v_add_f32_e32 v1, v1, v2
	s_delay_alu instid0(VALU_DEP_1) | instskip(NEXT) | instid1(VALU_DEP_1)
	v_add_f32_e32 v13, v1, v3
	v_pk_add_f32 v[2:3], v[6:7], v[12:13]
	v_pk_add_f32 v[8:9], v[6:7], v[12:13] neg_lo:[0,1] neg_hi:[0,1]
	s_delay_alu instid0(VALU_DEP_2) | instskip(NEXT) | instid1(VALU_DEP_1)
	v_mov_b32_e32 v9, v3
	v_pk_add_f32 v[10:11], v[4:5], v[8:9]
	v_pk_add_f32 v[4:5], v[4:5], v[8:9] neg_lo:[0,1] neg_hi:[0,1]
	v_dual_mov_b32 v16, v3 :: v_dual_mov_b32 v5, v6
	s_delay_alu instid0(VALU_DEP_3) | instskip(NEXT) | instid1(VALU_DEP_3)
	v_dual_mov_b32 v12, v11 :: v_dual_mov_b32 v17, v11
	v_readfirstlane_b32 s12, v4
	s_delay_alu instid0(VALU_DEP_2) | instskip(NEXT) | instid1(VALU_DEP_2)
	v_pk_add_f32 v[8:9], v[12:13], v[6:7] neg_lo:[0,1] neg_hi:[0,1]
	v_dual_mov_b32 v4, v13 :: v_dual_mov_b32 v10, s12
	s_delay_alu instid0(VALU_DEP_2) | instskip(NEXT) | instid1(VALU_DEP_1)
	v_dual_mov_b32 v15, v8 :: v_dual_mov_b32 v1, v8
	v_pk_add_f32 v[6:7], v[16:17], v[14:15] neg_lo:[0,1] neg_hi:[0,1]
	s_delay_alu instid0(VALU_DEP_2) | instskip(SKIP_1) | instid1(VALU_DEP_3)
	v_pk_add_f32 v[2:3], v[2:3], v[0:1] neg_lo:[0,1] neg_hi:[0,1]
	v_mov_b32_e32 v2, s12
	v_pk_add_f32 v[4:5], v[4:5], v[6:7] neg_lo:[0,1] neg_hi:[0,1]
	s_delay_alu instid0(VALU_DEP_1) | instskip(NEXT) | instid1(VALU_DEP_1)
	v_pk_add_f32 v[2:3], v[2:3], v[4:5]
	v_readfirstlane_b32 s13, v2
	s_delay_alu instid0(VALU_DEP_2) | instskip(NEXT) | instid1(VALU_DEP_1)
	v_mov_b32_e32 v6, v3
	v_pk_add_f32 v[6:7], v[2:3], v[6:7]
	s_delay_alu instid0(VALU_DEP_3) | instskip(NEXT) | instid1(VALU_DEP_2)
	v_mov_b32_e32 v2, s13
	v_pk_add_f32 v[8:9], v[12:13], v[6:7]
	v_mov_b32_e32 v5, v6
	s_delay_alu instid0(VALU_DEP_2) | instskip(NEXT) | instid1(VALU_DEP_1)
	v_readfirstlane_b32 s14, v8
	v_mov_b32_e32 v3, s14
	s_delay_alu instid0(VALU_DEP_1) | instskip(NEXT) | instid1(VALU_DEP_1)
	v_pk_add_f32 v[2:3], v[2:3], v[10:11] neg_lo:[0,1] neg_hi:[0,1]
	v_readfirstlane_b32 s15, v2
	s_delay_alu instid0(VALU_DEP_2) | instskip(SKIP_1) | instid1(VALU_DEP_1)
	v_pk_add_f32 v[2:3], v[4:5], v[2:3] neg_lo:[0,1] neg_hi:[0,1]
	s_sub_f32 s13, s13, s15
	v_readfirstlane_b32 s15, v2
	s_delay_alu instid0(SALU_CYCLE_2) | instskip(SKIP_1) | instid1(SALU_CYCLE_2)
	s_sub_f32 s12, s12, s13
	v_readfirstlane_b32 s13, v3
	s_add_f32 s12, s15, s12
	s_delay_alu instid0(SALU_CYCLE_3) | instskip(NEXT) | instid1(SALU_CYCLE_3)
	s_add_f32 s12, s12, s13
	s_add_f32 s13, s14, s12
	s_delay_alu instid0(SALU_CYCLE_3) | instskip(SKIP_1) | instid1(SALU_CYCLE_2)
	s_mul_f32 s15, s11, s13
	s_sub_f32 s14, s13, s14
	s_xor_b32 s16, s15, 0x80000000
	s_delay_alu instid0(SALU_CYCLE_2) | instskip(SKIP_1) | instid1(SALU_CYCLE_3)
	s_sub_f32 s12, s12, s14
	s_fmac_f32 s16, s11, s13
	s_fmac_f32 s16, s11, s12
	v_cmp_class_f32_e64 s12, s15, 0x204
	s_delay_alu instid0(SALU_CYCLE_2) | instskip(SKIP_1) | instid1(SALU_CYCLE_2)
	s_add_f32 s13, s15, s16
	s_and_b32 s12, s12, exec_lo
	s_sub_f32 s12, s13, s15
	s_cselect_b32 s13, s15, s13
	s_delay_alu instid0(SALU_CYCLE_1) | instskip(NEXT) | instid1(SALU_CYCLE_1)
	s_and_b32 s14, s13, 0x7fffffff
	s_sub_f32 s12, s16, s12
	s_cmp_neq_f32 s14, 0x7f800000
	s_delay_alu instid0(SALU_CYCLE_2) | instskip(SKIP_2) | instid1(SALU_CYCLE_1)
	s_cselect_b32 s12, s12, 0
	s_cmp_eq_f32 s13, 0x42b17218
	s_cselect_b32 s14, 0x37000000, 0
	s_sub_f32 s13, s13, s14
	s_add_f32 s12, s14, s12
	s_delay_alu instid0(SALU_CYCLE_2) | instskip(NEXT) | instid1(SALU_CYCLE_3)
	s_mul_f32 s15, s13, 0x3fb8aa3b
	s_xor_b32 s16, s15, 0x80000000
	s_rndne_f32 s17, s15
	s_fmamk_f32 s16, s13, 0x3fb8aa3b, s16
	s_cmp_nlt_f32 s13, 0xc2ce8ed0
	s_delay_alu instid0(SALU_CYCLE_1) | instskip(NEXT) | instid1(SALU_CYCLE_1)
	s_sub_f32 s15, s15, s17
	s_fmamk_f32 s16, s13, 0x32a5705f, s16
	s_cselect_b32 vcc_lo, -1, 0
	s_cmp_ngt_f32 s13, 0x42b17218
	s_trunc_f32 s13, s11
	s_add_f32 s15, s15, s16
	s_cvt_i32_f32 s16, s17
	s_delay_alu instid0(SALU_CYCLE_2)
	v_s_exp_f32 s15, s15
	v_nop
	s_delay_alu instid0(TRANS32_DEP_1) | instid1(SALU_CYCLE_1)
	v_ldexp_f32 v1, s15, s16
	s_mul_f32 s15, s11, 0.5
	s_delay_alu instid0(VALU_DEP_1) | instskip(SKIP_3) | instid1(VALU_DEP_1)
	v_cndmask_b32_e32 v1, 0, v1, vcc_lo
	s_cselect_b32 vcc_lo, -1, 0
	s_cmp_eq_f32 s13, s11
	s_trunc_f32 s16, s15
	v_cndmask_b32_e32 v1, 0x7f800000, v1, vcc_lo
	s_cselect_b32 s17, -1, 0
	s_delay_alu instid0(SALU_CYCLE_1) | instskip(NEXT) | instid1(VALU_DEP_1)
	s_cmp_neq_f32 s16, s15
	v_fma_f32 v2, s12, v1, v1
	v_cmp_class_f32_e64 vcc_lo, v1, 0x204
	s_cselect_b32 s14, -1, 0
	s_delay_alu instid0(SALU_CYCLE_1)
	s_and_b32 s12, s17, s14
	v_cndmask_b32_e32 v1, v2, v1, vcc_lo
	s_and_b32 s14, s12, exec_lo
	s_cselect_b32 s14, s3, 1.0
	s_cmp_eq_f32 s13, s11
	v_cmp_class_f32_e64 s13, s3, 0x204
	v_bfi_b32 v1, 0x7fffffff, v1, s14
	s_cselect_b32 vcc_lo, -1, 0
	s_cmp_lt_f32 s3, 0
	s_delay_alu instid0(VALU_DEP_1) | instskip(SKIP_2) | instid1(VALU_DEP_1)
	v_cndmask_b32_e32 v2, 0x7fc00000, v1, vcc_lo
	s_cselect_b32 vcc_lo, -1, 0
	s_cmp_eq_f32 s3, 0
	v_cndmask_b32_e32 v1, v1, v2, vcc_lo
	s_cselect_b32 s14, -1, 0
	s_delay_alu instid0(SALU_CYCLE_1) | instskip(SKIP_2) | instid1(SALU_CYCLE_1)
	s_or_b32 vcc_lo, s14, s13
	s_cmp_lt_f32 s11, 0
	s_cselect_b32 s11, -1, 0
	s_xor_b32 s11, s11, s14
	s_delay_alu instid0(SALU_CYCLE_1)
	s_and_b32 s11, s11, exec_lo
	s_cselect_b32 s11, 0, 0x7f800000
	s_and_b32 s12, s12, exec_lo
	s_cselect_b32 s12, s3, 0
	s_cmp_o_f32 s3, s3
	v_mov_b32_e32 v2, s12
	s_delay_alu instid0(VALU_DEP_1) | instskip(NEXT) | instid1(VALU_DEP_1)
	v_bfi_b32 v2, 0x7fffffff, s11, v2
	v_cndmask_b32_e32 v1, v1, v2, vcc_lo
	s_cselect_b32 vcc_lo, -1, 0
	s_delay_alu instid0(VALU_DEP_1)
	v_cndmask_b32_e32 v6, 0x7fc00000, v1, vcc_lo
.LBB4_8:
	s_load_b256 s[12:19], s[0:1], 0x0
	s_wait_kmcnt 0x0
	s_cmp_lg_u64 s[16:17], 0
	s_cselect_b32 s3, -1, 0
	s_cmp_eq_u64 s[16:17], 0
	s_cbranch_scc1 .LBB4_12
; %bb.9:
	s_load_b32 s11, s[16:17], s2 offset:0x0 scale_offset
	s_branch .LBB4_13
.LBB4_10:
                                        ; implicit-def: $sgpr20_sgpr21
	s_branch .LBB4_2
.LBB4_11:
                                        ; implicit-def: $sgpr24_sgpr25
	s_branch .LBB4_5
.LBB4_12:
	s_mov_b32 s11, 0xff800000
.LBB4_13:
	s_bfe_u32 s0, ttmp6, 0x4000c
	s_and_b32 s1, ttmp6, 15
	s_add_co_i32 s0, s0, 1
	s_mul_i32 s22, s27, s22
	s_mul_i32 s0, ttmp9, s0
	v_dual_mov_b32 v3, 0 :: v_dual_lshlrev_b32 v2, 2, v0
	s_add_co_i32 s1, s1, s0
	s_cmp_eq_u32 s28, 0
	s_cselect_b32 s0, ttmp9, s1
	s_add_co_i32 s1, s22, s2
	s_delay_alu instid0(SALU_CYCLE_1) | instskip(NEXT) | instid1(SALU_CYCLE_1)
	s_mul_i32 s1, s1, s26
	s_add_co_i32 s22, s1, s0
	s_mov_b32 s1, 0
	s_ashr_i32 s23, s22, 31
	s_mul_u64 s[0:1], s[4:5], s[0:1]
	s_lshl_b64 s[26:27], s[22:23], 14
	s_mul_u64 s[4:5], s[20:21], s[6:7]
	s_add_nc_u64 s[12:13], s[12:13], s[26:27]
	s_add_nc_u64 s[0:1], s[4:5], s[0:1]
	global_load_b32 v1, v0, s[12:13] scale_offset
	s_mul_u64 s[4:5], s[24:25], s[8:9]
	v_add_nc_u64_e32 v[4:5], s[12:13], v[2:3]
	s_add_nc_u64 s[0:1], s[0:1], s[4:5]
	v_mov_b32_e32 v2, 0
	s_lshr_b64 s[0:1], s[0:1], 1
	s_cmp_lg_u64 s[14:15], 0
	s_cselect_b32 s4, -1, 0
	s_delay_alu instid0(SALU_CYCLE_1) | instskip(SKIP_2) | instid1(SALU_CYCLE_1)
	s_and_b32 vcc_lo, s4, exec_lo
	s_cselect_b32 s1, s1, 0
	s_cselect_b32 s0, s0, 0
	s_lshl_b64 s[0:1], s[0:1], 1
	s_delay_alu instid0(SALU_CYCLE_1)
	s_add_nc_u64 s[0:1], s[14:15], s[0:1]
	s_cbranch_vccz .LBB4_15
; %bb.14:
	global_load_u16 v2, v0, s[0:1] scale_offset
	s_wait_loadcnt 0x0
	v_cvt_f32_f16_e32 v2, v2
	s_delay_alu instid0(VALU_DEP_1)
	v_mul_f32_e32 v2, v6, v2
.LBB4_15:
	global_load_b32 v8, v[4:5], off offset:4096
	v_cndmask_b32_e64 v7, 0, 1, s4
	s_wait_loadcnt 0x1
	v_fmac_f32_e32 v2, s10, v1
	v_lshl_add_u32 v1, v0, 2, 0
	s_and_not1_b32 vcc_lo, exec_lo, s4
	ds_store_b32 v1, v2 offset:128
	s_cbranch_vccnz .LBB4_17
; %bb.16:
	global_load_u16 v3, v0, s[0:1] offset:2048 scale_offset
	s_wait_loadcnt 0x0
	v_cvt_f32_f16_e32 v3, v3
	s_delay_alu instid0(VALU_DEP_1)
	v_mul_f32_e32 v3, v6, v3
.LBB4_17:
	global_load_b32 v10, v[4:5], off offset:8192
	v_cmp_ne_u32_e32 vcc_lo, 1, v7
	s_wait_loadcnt 0x1
	v_dual_fmac_f32 v3, s10, v8 :: v_dual_mov_b32 v8, 0
	v_mov_b32_e32 v9, 0
	ds_store_b32 v1, v3 offset:4224
	s_cbranch_vccnz .LBB4_19
; %bb.18:
	global_load_u16 v9, v0, s[0:1] offset:4096 scale_offset
	s_wait_loadcnt 0x0
	v_cvt_f32_f16_e32 v9, v9
	s_delay_alu instid0(VALU_DEP_1)
	v_mul_f32_e32 v9, v6, v9
.LBB4_19:
	global_load_b32 v4, v[4:5], off offset:12288
	v_cmp_ne_u32_e32 vcc_lo, 1, v7
	s_wait_loadcnt 0x1
	v_fmac_f32_e32 v9, s10, v10
	ds_store_b32 v1, v9 offset:8320
	s_cbranch_vccnz .LBB4_21
; %bb.20:
	global_load_u16 v5, v0, s[0:1] offset:6144 scale_offset
	s_wait_loadcnt 0x0
	v_cvt_f32_f16_e32 v5, v5
	s_delay_alu instid0(VALU_DEP_1)
	v_mul_f32_e32 v8, v6, v5
.LBB4_21:
	v_mbcnt_lo_u32_b32 v6, -1, 0
	s_wait_kmcnt 0x0
	v_max3_num_f32 v2, s11, v2, v3
	s_wait_loadcnt 0x0
	s_delay_alu instid0(VALU_DEP_2) | instskip(NEXT) | instid1(VALU_DEP_1)
	v_dual_fmac_f32 v8, s10, v4 :: v_dual_bitop2_b32 v5, 16, v6 bitop3:0x14
	v_max3_num_f32 v4, v2, v9, v8
	ds_store_b32 v1, v8 offset:12416
	v_cmp_gt_i32_e32 vcc_lo, 32, v5
	v_dual_cndmask_b32 v3, v6, v5, vcc_lo :: v_dual_bitop2_b32 v5, 8, v6 bitop3:0x14
	s_delay_alu instid0(VALU_DEP_1) | instskip(NEXT) | instid1(VALU_DEP_2)
	v_cmp_gt_i32_e32 vcc_lo, 32, v5
	v_dual_cndmask_b32 v5, v6, v5 :: v_dual_lshlrev_b32 v2, 2, v3
	ds_bpermute_b32 v3, v2, v4
	s_wait_dscnt 0x0
	v_dual_max_num_f32 v7, v3, v3 :: v_dual_lshlrev_b32 v3, 2, v5
	s_delay_alu instid0(VALU_DEP_1) | instskip(SKIP_4) | instid1(VALU_DEP_1)
	v_dual_max_num_f32 v5, v4, v7 :: v_dual_bitop2_b32 v7, 4, v6 bitop3:0x14
	ds_bpermute_b32 v4, v3, v5
	v_cmp_gt_i32_e32 vcc_lo, 32, v7
	s_wait_dscnt 0x0
	v_dual_cndmask_b32 v7, v6, v7, vcc_lo :: v_dual_max_num_f32 v9, v4, v4
	v_dual_max_num_f32 v7, v5, v9 :: v_dual_lshlrev_b32 v4, 2, v7
	ds_bpermute_b32 v5, v4, v7
	s_wait_dscnt 0x0
	v_dual_max_num_f32 v10, v5, v5 :: v_dual_bitop2_b32 v9, 2, v6 bitop3:0x14
	s_delay_alu instid0(VALU_DEP_1) | instskip(NEXT) | instid1(VALU_DEP_2)
	v_cmp_gt_i32_e32 vcc_lo, 32, v9
	v_dual_max_num_f32 v7, v7, v10 :: v_dual_cndmask_b32 v9, v6, v9, vcc_lo
	s_delay_alu instid0(VALU_DEP_1) | instskip(NEXT) | instid1(VALU_DEP_1)
	v_dual_lshlrev_b32 v5, 2, v9 :: v_dual_bitop2_b32 v10, 1, v6 bitop3:0x14
	v_cmp_gt_i32_e32 vcc_lo, 32, v10
	ds_bpermute_b32 v9, v5, v7
	v_cndmask_b32_e32 v6, v6, v10, vcc_lo
	s_wait_dscnt 0x0
	s_delay_alu instid0(VALU_DEP_1) | instskip(NEXT) | instid1(VALU_DEP_1)
	v_dual_max_num_f32 v9, v9, v9 :: v_dual_lshlrev_b32 v6, 2, v6
	v_dual_max_num_f32 v10, v7, v9 :: v_dual_bitop2_b32 v9, 31, v0 bitop3:0x40
	v_lshrrev_b32_e32 v7, 3, v0
	ds_bpermute_b32 v11, v6, v10
	v_cmp_eq_u32_e32 vcc_lo, 0, v9
	s_and_saveexec_b32 s0, vcc_lo
	s_delay_alu instid0(SALU_CYCLE_1)
	s_xor_b32 s0, exec_lo, s0
	s_cbranch_execz .LBB4_23
; %bb.22:
	s_wait_dscnt 0x0
	v_dual_max_num_f32 v8, v11, v11 :: v_dual_max_num_f32 v10, v10, v10
	s_delay_alu instid0(VALU_DEP_1)
	v_dual_max_num_f32 v8, v10, v8 :: v_dual_add_nc_u32 v10, 0, v7
	ds_store_b32 v10, v8
.LBB4_23:
	s_or_b32 exec_lo, exec_lo, s0
	v_lshl_add_u32 v8, v9, 2, 0
	s_wait_dscnt 0x0
	s_barrier_signal -1
	s_barrier_wait -1
	ds_load_b32 v9, v8
	s_wait_dscnt 0x0
	ds_bpermute_b32 v10, v2, v9
	s_wait_dscnt 0x0
	v_dual_max_num_f32 v9, v9, v9 :: v_dual_max_num_f32 v10, v10, v10
	s_delay_alu instid0(VALU_DEP_1) | instskip(SKIP_3) | instid1(VALU_DEP_1)
	v_max_num_f32_e32 v9, v9, v10
	ds_bpermute_b32 v10, v3, v9
	s_wait_dscnt 0x0
	v_max_num_f32_e32 v10, v10, v10
	v_max_num_f32_e32 v9, v9, v10
	ds_bpermute_b32 v10, v4, v9
	s_wait_dscnt 0x0
	v_max_num_f32_e32 v10, v10, v10
	s_delay_alu instid0(VALU_DEP_1) | instskip(SKIP_3) | instid1(VALU_DEP_1)
	v_max_num_f32_e32 v9, v9, v10
	ds_bpermute_b32 v10, v5, v9
	s_wait_dscnt 0x0
	v_max_num_f32_e32 v10, v10, v10
	v_max_num_f32_e32 v9, v9, v10
	ds_bpermute_b32 v14, v6, v9
	s_wait_dscnt 0x0
	v_dual_max_num_f32 v14, v14, v14 :: v_dual_add_nc_u32 v15, 0x80, v1
	ds_load_2addr_stride64_b32 v[10:11], v15 offset1:16
	ds_load_2addr_stride64_b32 v[12:13], v15 offset0:32 offset1:48
	v_max_num_f32_e32 v9, v9, v14
	s_wait_dscnt 0x1
	s_delay_alu instid0(VALU_DEP_1) | instskip(NEXT) | instid1(VALU_DEP_1)
	v_sub_f32_e32 v11, v11, v9
	v_mul_f32_e32 v16, 0x3fb8aa3b, v11
	s_wait_dscnt 0x0
	v_dual_sub_f32 v10, v10, v9 :: v_dual_sub_f32 v12, v12, v9
	v_sub_f32_e32 v13, v13, v9
	s_delay_alu instid0(VALU_DEP_3) | instskip(NEXT) | instid1(VALU_DEP_3)
	v_fma_f32 v21, 0x3fb8aa3b, v11, -v16
	v_dual_mul_f32 v14, 0x3fb8aa3b, v10 :: v_dual_mul_f32 v17, 0x3fb8aa3b, v12
	s_delay_alu instid0(VALU_DEP_3) | instskip(SKIP_1) | instid1(VALU_DEP_4)
	v_mul_f32_e32 v18, 0x3fb8aa3b, v13
	v_rndne_f32_e32 v22, v16
	v_fmac_f32_e32 v21, 0x32a5705f, v11
	s_delay_alu instid0(VALU_DEP_4) | instskip(SKIP_4) | instid1(VALU_DEP_4)
	v_fma_f32 v19, 0x3fb8aa3b, v10, -v14
	v_rndne_f32_e32 v20, v14
	v_fma_f32 v23, 0x3fb8aa3b, v12, -v17
	v_rndne_f32_e32 v24, v17
	v_rndne_f32_e32 v26, v18
	v_dual_fmac_f32 v19, 0x32a5705f, v10 :: v_dual_sub_f32 v14, v14, v20
	s_delay_alu instid0(VALU_DEP_4) | instskip(SKIP_1) | instid1(VALU_DEP_4)
	v_dual_sub_f32 v16, v16, v22 :: v_dual_fmac_f32 v23, 0x32a5705f, v12
	v_fma_f32 v25, 0x3fb8aa3b, v13, -v18
	v_dual_sub_f32 v17, v17, v24 :: v_dual_sub_f32 v18, v18, v26
	s_delay_alu instid0(VALU_DEP_3) | instskip(SKIP_1) | instid1(VALU_DEP_3)
	v_dual_add_f32 v14, v14, v19 :: v_dual_add_f32 v16, v16, v21
	v_cvt_i32_f32_e32 v19, v20
	v_add_f32_e32 v17, v17, v23
	v_cvt_i32_f32_e32 v20, v22
	s_delay_alu instid0(VALU_DEP_4)
	v_exp_f32_e32 v14, v14
	v_exp_f32_e32 v16, v16
	v_cmp_ngt_f32_e64 s0, 0xc2ce8ed0, v10
	v_exp_f32_e32 v17, v17
	v_cvt_i32_f32_e32 v21, v24
	v_cvt_i32_f32_e32 v22, v26
	s_delay_alu instid0(TRANS32_DEP_3) | instskip(NEXT) | instid1(TRANS32_DEP_2)
	v_ldexp_f32 v14, v14, v19
	v_ldexp_f32 v16, v16, v20
	s_delay_alu instid0(TRANS32_DEP_1) | instid1(VALU_DEP_4)
	v_ldexp_f32 v17, v17, v21
	s_delay_alu instid0(VALU_DEP_3) | instskip(SKIP_1) | instid1(VALU_DEP_1)
	v_cndmask_b32_e64 v14, 0, v14, s0
	v_cmp_ngt_f32_e64 s0, 0xc2ce8ed0, v11
	v_cndmask_b32_e64 v16, 0, v16, s0
	v_cmp_ngt_f32_e64 s0, 0xc2ce8ed0, v12
	s_delay_alu instid0(VALU_DEP_1) | instskip(SKIP_1) | instid1(VALU_DEP_1)
	v_cndmask_b32_e64 v17, 0, v17, s0
	v_cmp_nlt_f32_e64 s0, 0x42b17218, v10
	v_cndmask_b32_e64 v14, 0x7f800000, v14, s0
	v_cmp_nlt_f32_e64 s0, 0x42b17218, v11
	s_delay_alu instid0(VALU_DEP_1) | instskip(SKIP_1) | instid1(VALU_DEP_2)
	v_cndmask_b32_e64 v16, 0x7f800000, v16, s0
	v_cmp_nlt_f32_e64 s0, 0x42b17218, v12
	v_add_f32_e32 v11, v14, v16
	s_delay_alu instid0(VALU_DEP_2) | instskip(SKIP_1) | instid1(VALU_DEP_2)
	v_cndmask_b32_e64 v12, 0x7f800000, v17, s0
	v_cmp_ngt_f32_e64 s0, 0xc2ce8ed0, v13
	v_add_f32_e32 v11, v11, v12
	v_fmac_f32_e32 v25, 0x32a5705f, v13
	s_delay_alu instid0(VALU_DEP_1) | instskip(NEXT) | instid1(VALU_DEP_1)
	v_add_f32_e32 v18, v18, v25
	v_exp_f32_e32 v18, v18
	v_nop
	s_delay_alu instid0(TRANS32_DEP_1) | instskip(NEXT) | instid1(VALU_DEP_1)
	v_ldexp_f32 v10, v18, v22
	v_cndmask_b32_e64 v10, 0, v10, s0
	v_cmp_nlt_f32_e64 s0, 0x42b17218, v13
	s_delay_alu instid0(VALU_DEP_1)
	v_cndmask_b32_e64 v13, 0x7f800000, v10, s0
	ds_store_2addr_stride64_b32 v15, v14, v16 offset1:16
	ds_store_2addr_stride64_b32 v15, v12, v13 offset0:32 offset1:48
	v_add_f32_e32 v10, v11, v13
	ds_bpermute_b32 v11, v2, v10
	s_wait_dscnt 0x0
	v_add_f32_e32 v10, v10, v11
	ds_bpermute_b32 v11, v3, v10
	s_wait_dscnt 0x0
	;; [unrolled: 3-line block ×4, first 2 shown]
	v_add_f32_e32 v10, v10, v11
	ds_bpermute_b32 v11, v6, v10
	s_and_saveexec_b32 s0, vcc_lo
	s_cbranch_execz .LBB4_25
; %bb.24:
	s_wait_dscnt 0x0
	v_add_f32_e32 v10, v10, v11
	v_add_nc_u32_e32 v7, 0, v7
	ds_store_b32 v7, v10
.LBB4_25:
	s_or_b32 exec_lo, exec_lo, s0
	s_wait_dscnt 0x0
	s_barrier_signal -1
	s_barrier_wait -1
	ds_load_b32 v7, v8
	s_and_not1_b32 vcc_lo, exec_lo, s3
	s_lshl_b64 s[0:1], s[22:23], 12
	s_wait_dscnt 0x0
	ds_bpermute_b32 v2, v2, v7
	s_wait_dscnt 0x0
	v_add_f32_e32 v2, v7, v2
	ds_bpermute_b32 v3, v3, v2
	s_wait_dscnt 0x0
	v_add_f32_e32 v2, v2, v3
	;; [unrolled: 3-line block ×5, first 2 shown]
	s_cbranch_vccnz .LBB4_27
; %bb.26:
	s_load_b32 s2, s[16:17], s2 offset:0x0 scale_offset
	s_wait_kmcnt 0x0
	v_sub_f32_e32 v3, s2, v9
	s_delay_alu instid0(VALU_DEP_1) | instskip(NEXT) | instid1(VALU_DEP_1)
	v_mul_f32_e32 v4, 0x3fb8aa3b, v3
	v_fma_f32 v5, 0x3fb8aa3b, v3, -v4
	v_rndne_f32_e32 v6, v4
	s_delay_alu instid0(VALU_DEP_1) | instskip(SKIP_1) | instid1(VALU_DEP_4)
	v_sub_f32_e32 v4, v4, v6
	v_cmp_ngt_f32_e32 vcc_lo, 0xc2ce8ed0, v3
	v_fmamk_f32 v5, v3, 0x32a5705f, v5
	s_delay_alu instid0(VALU_DEP_1) | instskip(SKIP_1) | instid1(VALU_DEP_2)
	v_add_f32_e32 v4, v4, v5
	v_cvt_i32_f32_e32 v5, v6
	v_exp_f32_e32 v4, v4
	v_nop
	s_delay_alu instid0(TRANS32_DEP_1) | instskip(NEXT) | instid1(VALU_DEP_1)
	v_ldexp_f32 v4, v4, v5
	v_cndmask_b32_e32 v4, 0, v4, vcc_lo
	v_cmp_nlt_f32_e32 vcc_lo, 0x42b17218, v3
	s_delay_alu instid0(VALU_DEP_2) | instskip(NEXT) | instid1(VALU_DEP_1)
	v_cndmask_b32_e32 v3, 0x7f800000, v4, vcc_lo
	v_add_f32_e32 v2, v2, v3
.LBB4_27:
	s_delay_alu instid0(VALU_DEP_1)
	v_div_scale_f32 v3, null, v2, v2, 1.0
	v_div_scale_f32 v9, vcc_lo, 1.0, v2, 1.0
	s_lshl_b64 s[0:1], s[0:1], 2
	v_rcp_f32_e32 v8, v3
	s_add_nc_u64 s[0:1], s[18:19], s[0:1]
	v_add_nc_u32_e32 v1, 0x80, v1
	s_delay_alu instid0(TRANS32_DEP_1) | instskip(NEXT) | instid1(VALU_DEP_1)
	v_fma_f32 v4, -v3, v8, 1.0
	v_fmac_f32_e32 v8, v4, v8
	ds_load_2addr_stride64_b32 v[4:5], v1 offset1:16
	v_mul_f32_e32 v10, v9, v8
	s_delay_alu instid0(VALU_DEP_1) | instskip(NEXT) | instid1(VALU_DEP_1)
	v_fma_f32 v6, -v3, v10, v9
	v_fmac_f32_e32 v10, v6, v8
	ds_load_2addr_stride64_b32 v[6:7], v1 offset0:32 offset1:48
	v_fma_f32 v1, -v3, v10, v9
	s_delay_alu instid0(VALU_DEP_1) | instskip(NEXT) | instid1(VALU_DEP_1)
	v_div_fmas_f32 v1, v1, v8, v10
	v_div_fixup_f32 v1, v1, v2, 1.0
	s_wait_dscnt 0x0
	s_delay_alu instid0(VALU_DEP_1)
	v_dual_mul_f32 v2, v1, v4 :: v_dual_mul_f32 v4, v1, v6
	v_dual_mul_f32 v3, v1, v5 :: v_dual_mul_f32 v1, v1, v7
	s_clause 0x3
	global_store_b32 v0, v2, s[0:1] scale_offset
	global_store_b32 v0, v3, s[0:1] offset:4096 scale_offset
	global_store_b32 v0, v4, s[0:1] offset:8192 scale_offset
	;; [unrolled: 1-line block ×3, first 2 shown]
	s_endpgm
	.section	.rodata,"a",@progbits
	.p2align	6, 0x0
	.amdhsa_kernel _ZL12soft_max_f32ILb1ELi4096ELi1024E6__halfEvPKfPKT2_S2_Pf15soft_max_params
		.amdhsa_group_segment_fixed_size 0
		.amdhsa_private_segment_fixed_size 0
		.amdhsa_kernarg_size 416
		.amdhsa_user_sgpr_count 2
		.amdhsa_user_sgpr_dispatch_ptr 0
		.amdhsa_user_sgpr_queue_ptr 0
		.amdhsa_user_sgpr_kernarg_segment_ptr 1
		.amdhsa_user_sgpr_dispatch_id 0
		.amdhsa_user_sgpr_kernarg_preload_length 0
		.amdhsa_user_sgpr_kernarg_preload_offset 0
		.amdhsa_user_sgpr_private_segment_size 0
		.amdhsa_wavefront_size32 1
		.amdhsa_uses_dynamic_stack 0
		.amdhsa_enable_private_segment 0
		.amdhsa_system_sgpr_workgroup_id_x 1
		.amdhsa_system_sgpr_workgroup_id_y 1
		.amdhsa_system_sgpr_workgroup_id_z 1
		.amdhsa_system_sgpr_workgroup_info 0
		.amdhsa_system_vgpr_workitem_id 0
		.amdhsa_next_free_vgpr 27
		.amdhsa_next_free_sgpr 36
		.amdhsa_named_barrier_count 0
		.amdhsa_reserve_vcc 1
		.amdhsa_float_round_mode_32 0
		.amdhsa_float_round_mode_16_64 0
		.amdhsa_float_denorm_mode_32 3
		.amdhsa_float_denorm_mode_16_64 3
		.amdhsa_fp16_overflow 0
		.amdhsa_memory_ordered 1
		.amdhsa_forward_progress 1
		.amdhsa_inst_pref_size 40
		.amdhsa_round_robin_scheduling 0
		.amdhsa_exception_fp_ieee_invalid_op 0
		.amdhsa_exception_fp_denorm_src 0
		.amdhsa_exception_fp_ieee_div_zero 0
		.amdhsa_exception_fp_ieee_overflow 0
		.amdhsa_exception_fp_ieee_underflow 0
		.amdhsa_exception_fp_ieee_inexact 0
		.amdhsa_exception_int_div_zero 0
	.end_amdhsa_kernel
	.section	.text._ZL12soft_max_f32ILb1ELi4096ELi1024E6__halfEvPKfPKT2_S2_Pf15soft_max_params,"axG",@progbits,_ZL12soft_max_f32ILb1ELi4096ELi1024E6__halfEvPKfPKT2_S2_Pf15soft_max_params,comdat
.Lfunc_end4:
	.size	_ZL12soft_max_f32ILb1ELi4096ELi1024E6__halfEvPKfPKT2_S2_Pf15soft_max_params, .Lfunc_end4-_ZL12soft_max_f32ILb1ELi4096ELi1024E6__halfEvPKfPKT2_S2_Pf15soft_max_params
                                        ; -- End function
	.set _ZL12soft_max_f32ILb1ELi4096ELi1024E6__halfEvPKfPKT2_S2_Pf15soft_max_params.num_vgpr, 27
	.set _ZL12soft_max_f32ILb1ELi4096ELi1024E6__halfEvPKfPKT2_S2_Pf15soft_max_params.num_agpr, 0
	.set _ZL12soft_max_f32ILb1ELi4096ELi1024E6__halfEvPKfPKT2_S2_Pf15soft_max_params.numbered_sgpr, 36
	.set _ZL12soft_max_f32ILb1ELi4096ELi1024E6__halfEvPKfPKT2_S2_Pf15soft_max_params.num_named_barrier, 0
	.set _ZL12soft_max_f32ILb1ELi4096ELi1024E6__halfEvPKfPKT2_S2_Pf15soft_max_params.private_seg_size, 0
	.set _ZL12soft_max_f32ILb1ELi4096ELi1024E6__halfEvPKfPKT2_S2_Pf15soft_max_params.uses_vcc, 1
	.set _ZL12soft_max_f32ILb1ELi4096ELi1024E6__halfEvPKfPKT2_S2_Pf15soft_max_params.uses_flat_scratch, 0
	.set _ZL12soft_max_f32ILb1ELi4096ELi1024E6__halfEvPKfPKT2_S2_Pf15soft_max_params.has_dyn_sized_stack, 0
	.set _ZL12soft_max_f32ILb1ELi4096ELi1024E6__halfEvPKfPKT2_S2_Pf15soft_max_params.has_recursion, 0
	.set _ZL12soft_max_f32ILb1ELi4096ELi1024E6__halfEvPKfPKT2_S2_Pf15soft_max_params.has_indirect_call, 0
	.section	.AMDGPU.csdata,"",@progbits
; Kernel info:
; codeLenInByte = 5040
; TotalNumSgprs: 38
; NumVgprs: 27
; ScratchSize: 0
; MemoryBound: 0
; FloatMode: 240
; IeeeMode: 1
; LDSByteSize: 0 bytes/workgroup (compile time only)
; SGPRBlocks: 0
; VGPRBlocks: 1
; NumSGPRsForWavesPerEU: 38
; NumVGPRsForWavesPerEU: 27
; NamedBarCnt: 0
; Occupancy: 16
; WaveLimiterHint : 1
; COMPUTE_PGM_RSRC2:SCRATCH_EN: 0
; COMPUTE_PGM_RSRC2:USER_SGPR: 2
; COMPUTE_PGM_RSRC2:TRAP_HANDLER: 0
; COMPUTE_PGM_RSRC2:TGID_X_EN: 1
; COMPUTE_PGM_RSRC2:TGID_Y_EN: 1
; COMPUTE_PGM_RSRC2:TGID_Z_EN: 1
; COMPUTE_PGM_RSRC2:TIDIG_COMP_CNT: 0
	.section	.text._ZL12soft_max_f32ILb1ELi2048ELi1024E6__halfEvPKfPKT2_S2_Pf15soft_max_params,"axG",@progbits,_ZL12soft_max_f32ILb1ELi2048ELi1024E6__halfEvPKfPKT2_S2_Pf15soft_max_params,comdat
	.globl	_ZL12soft_max_f32ILb1ELi2048ELi1024E6__halfEvPKfPKT2_S2_Pf15soft_max_params ; -- Begin function _ZL12soft_max_f32ILb1ELi2048ELi1024E6__halfEvPKfPKT2_S2_Pf15soft_max_params
	.p2align	8
	.type	_ZL12soft_max_f32ILb1ELi2048ELi1024E6__halfEvPKfPKT2_S2_Pf15soft_max_params,@function
_ZL12soft_max_f32ILb1ELi2048ELi1024E6__halfEvPKfPKT2_S2_Pf15soft_max_params: ; @_ZL12soft_max_f32ILb1ELi2048ELi1024E6__halfEvPKfPKT2_S2_Pf15soft_max_params
; %bb.0:
	s_clause 0x1
	s_load_b256 s[4:11], s[0:1], 0x68
	s_load_b64 s[12:13], s[0:1], 0x88
	s_bfe_u32 s2, ttmp6, 0x40010
	s_and_b32 s3, ttmp7, 0xffff
	s_add_co_i32 s2, s2, 1
	s_bfe_u32 s14, ttmp6, 0x40004
	s_mul_i32 s2, s3, s2
	s_getreg_b32 s28, hwreg(HW_REG_IB_STS2, 6, 4)
	s_add_co_i32 s14, s14, s2
	s_cmp_eq_u32 s28, 0
	s_cselect_b32 s2, s3, s14
	s_mov_b32 s3, 0
	s_wait_kmcnt 0x0
	s_and_b64 s[14:15], s[10:11], 0xffffffff00000000
	s_delay_alu instid0(SALU_CYCLE_1)
	s_cmp_lg_u64 s[14:15], 0
	s_cbranch_scc0 .LBB5_10
; %bb.1:
	s_ashr_i32 s14, s11, 31
	s_mov_b32 s21, s3
	s_mov_b32 s15, s14
	;; [unrolled: 1-line block ×3, first 2 shown]
	s_add_nc_u64 s[16:17], s[10:11], s[14:15]
	s_delay_alu instid0(SALU_CYCLE_1) | instskip(NEXT) | instid1(SALU_CYCLE_1)
	s_xor_b64 s[14:15], s[16:17], s[14:15]
	s_cvt_f32_u32 s11, s14
	s_cvt_f32_u32 s16, s15
	s_sub_nc_u64 s[18:19], 0, s[14:15]
	s_delay_alu instid0(SALU_CYCLE_2) | instskip(NEXT) | instid1(SALU_CYCLE_3)
	s_fmamk_f32 s11, s16, 0x4f800000, s11
	v_s_rcp_f32 s11, s11
	s_delay_alu instid0(TRANS32_DEP_1) | instskip(NEXT) | instid1(SALU_CYCLE_3)
	s_mul_f32 s11, s11, 0x5f7ffffc
	s_mul_f32 s16, s11, 0x2f800000
	s_delay_alu instid0(SALU_CYCLE_3) | instskip(NEXT) | instid1(SALU_CYCLE_3)
	s_trunc_f32 s16, s16
	s_fmamk_f32 s11, s16, 0xcf800000, s11
	s_cvt_u32_f32 s17, s16
	s_delay_alu instid0(SALU_CYCLE_2) | instskip(NEXT) | instid1(SALU_CYCLE_3)
	s_cvt_u32_f32 s16, s11
	s_mul_u64 s[22:23], s[18:19], s[16:17]
	s_delay_alu instid0(SALU_CYCLE_1)
	s_mul_hi_u32 s27, s16, s23
	s_mul_i32 s26, s16, s23
	s_mul_hi_u32 s20, s16, s22
	s_mul_i32 s24, s17, s22
	s_add_nc_u64 s[20:21], s[20:21], s[26:27]
	s_mul_hi_u32 s11, s17, s22
	s_mul_hi_u32 s29, s17, s23
	s_add_co_u32 s20, s20, s24
	s_add_co_ci_u32 s24, s21, s11
	s_mul_i32 s22, s17, s23
	s_add_co_ci_u32 s23, s29, 0
	s_delay_alu instid0(SALU_CYCLE_1) | instskip(SKIP_3) | instid1(SALU_CYCLE_1)
	s_add_nc_u64 s[20:21], s[24:25], s[22:23]
	s_mov_b32 s23, s3
	s_add_co_u32 s16, s16, s20
	s_cselect_b32 s11, -1, 0
	s_cmp_lg_u32 s11, 0
	s_add_co_ci_u32 s17, s17, s21
	s_mov_b32 s21, s3
	s_mul_u64 s[18:19], s[18:19], s[16:17]
	s_delay_alu instid0(SALU_CYCLE_1)
	s_mul_hi_u32 s25, s16, s19
	s_mul_i32 s24, s16, s19
	s_mul_hi_u32 s20, s16, s18
	s_mul_i32 s22, s17, s18
	s_add_nc_u64 s[20:21], s[20:21], s[24:25]
	s_mul_hi_u32 s11, s17, s18
	s_mul_hi_u32 s26, s17, s19
	s_mul_i32 s18, s17, s19
	s_add_co_u32 s19, s20, s22
	s_add_co_ci_u32 s22, s21, s11
	s_add_co_ci_u32 s19, s26, 0
	s_add_nc_u64 s[20:21], s[2:3], 0
	s_add_nc_u64 s[18:19], s[22:23], s[18:19]
	s_delay_alu instid0(SALU_CYCLE_1) | instskip(SKIP_1) | instid1(SALU_CYCLE_1)
	s_add_co_u32 s11, s16, s18
	s_cselect_b32 s16, -1, 0
	s_cmp_lg_u32 s16, 0
	s_add_co_ci_u32 s18, s17, s19
	s_xor_b64 s[16:17], s[20:21], 0
	s_mov_b32 s19, s3
	s_mul_hi_u32 s21, s16, s18
	s_mul_i32 s20, s16, s18
	s_mul_hi_u32 s22, s16, s11
	s_mul_hi_u32 s25, s17, s11
	s_mul_i32 s11, s17, s11
	s_add_nc_u64 s[20:21], s[22:23], s[20:21]
	s_mul_hi_u32 s24, s17, s18
	s_add_co_u32 s11, s20, s11
	s_mul_i32 s22, s17, s18
	s_add_co_ci_u32 s18, s21, s25
	s_add_co_ci_u32 s23, s24, 0
	s_delay_alu instid0(SALU_CYCLE_1) | instskip(NEXT) | instid1(SALU_CYCLE_1)
	s_add_nc_u64 s[18:19], s[18:19], s[22:23]
	s_and_b64 s[20:21], s[18:19], 0xffffffff00000000
	s_delay_alu instid0(SALU_CYCLE_1) | instskip(NEXT) | instid1(SALU_CYCLE_1)
	s_or_b32 s20, s20, s18
	s_mul_u64 s[18:19], s[14:15], s[20:21]
	s_delay_alu instid0(SALU_CYCLE_1)
	s_sub_co_u32 s11, s16, s18
	s_cselect_b32 s16, -1, 0
	s_sub_co_i32 s18, s17, s19
	s_cmp_lg_u32 s16, 0
	s_sub_co_ci_u32 s18, s18, s15
	s_sub_co_u32 s20, s11, s14
	s_cselect_b32 s21, -1, 0
	s_delay_alu instid0(SALU_CYCLE_1) | instskip(SKIP_1) | instid1(SALU_CYCLE_1)
	s_cmp_lg_u32 s21, 0
	s_sub_co_ci_u32 s22, s18, 0
	s_cmp_ge_u32 s22, s15
	s_cselect_b32 s23, -1, 0
	s_cmp_ge_u32 s20, s14
	s_cselect_b32 s24, -1, 0
	s_cmp_eq_u32 s22, s15
	s_cselect_b32 s23, s24, s23
	s_cmp_lg_u32 s21, 0
	s_sub_co_ci_u32 s18, s18, s15
	s_sub_co_u32 s21, s20, s14
	s_cselect_b32 s24, -1, 0
	s_delay_alu instid0(SALU_CYCLE_1)
	s_cmp_lg_u32 s24, 0
	s_sub_co_ci_u32 s18, s18, 0
	s_cmp_lg_u32 s23, 0
	s_cselect_b32 s20, s21, s20
	s_cselect_b32 s18, s18, s22
	s_cmp_lg_u32 s16, 0
	s_sub_co_ci_u32 s16, s17, s19
	s_delay_alu instid0(SALU_CYCLE_1)
	s_cmp_ge_u32 s16, s15
	s_cselect_b32 s17, -1, 0
	s_cmp_ge_u32 s11, s14
	s_cselect_b32 s14, -1, 0
	s_cmp_eq_u32 s16, s15
	s_cselect_b32 s14, s14, s17
	s_delay_alu instid0(SALU_CYCLE_1) | instskip(SKIP_2) | instid1(SALU_CYCLE_1)
	s_cmp_lg_u32 s14, 0
	s_cselect_b32 s15, s18, s16
	s_cselect_b32 s14, s20, s11
	s_xor_b64 s[14:15], s[14:15], 0
	s_delay_alu instid0(SALU_CYCLE_1)
	s_sub_nc_u64 s[20:21], s[14:15], 0
	s_and_not1_b32 vcc_lo, exec_lo, s3
	s_cbranch_vccnz .LBB5_3
.LBB5_2:
	v_cvt_f32_u32_e32 v1, s10
	s_sub_co_i32 s11, 0, s10
	s_mov_b32 s21, 0
	s_delay_alu instid0(VALU_DEP_1) | instskip(SKIP_1) | instid1(TRANS32_DEP_1)
	v_rcp_iflag_f32_e32 v1, v1
	v_nop
	v_mul_f32_e32 v1, 0x4f7ffffe, v1
	s_delay_alu instid0(VALU_DEP_1) | instskip(NEXT) | instid1(VALU_DEP_1)
	v_cvt_u32_f32_e32 v1, v1
	v_readfirstlane_b32 s3, v1
	s_mul_i32 s11, s11, s3
	s_delay_alu instid0(SALU_CYCLE_1) | instskip(NEXT) | instid1(SALU_CYCLE_1)
	s_mul_hi_u32 s11, s3, s11
	s_add_co_i32 s3, s3, s11
	s_delay_alu instid0(SALU_CYCLE_1) | instskip(NEXT) | instid1(SALU_CYCLE_1)
	s_mul_hi_u32 s3, s2, s3
	s_mul_i32 s3, s3, s10
	s_delay_alu instid0(SALU_CYCLE_1) | instskip(NEXT) | instid1(SALU_CYCLE_1)
	s_sub_co_i32 s3, s2, s3
	s_sub_co_i32 s11, s3, s10
	s_cmp_ge_u32 s3, s10
	s_cselect_b32 s3, s11, s3
	s_delay_alu instid0(SALU_CYCLE_1)
	s_sub_co_i32 s11, s3, s10
	s_cmp_ge_u32 s3, s10
	s_cselect_b32 s20, s11, s3
.LBB5_3:
	s_load_b64 s[10:11], s[0:1], 0x90
	s_bfe_u32 s3, ttmp6, 0x40014
	s_lshr_b32 s14, ttmp7, 16
	s_add_co_i32 s3, s3, 1
	s_bfe_u32 s15, ttmp6, 0x40008
	s_mul_i32 s3, s14, s3
	s_mov_b32 s23, 0
	s_add_co_i32 s15, s15, s3
	s_cmp_eq_u32 s28, 0
	s_cselect_b32 s22, s14, s15
	s_and_b64 s[14:15], s[12:13], 0xffffffff00000000
	s_delay_alu instid0(SALU_CYCLE_1)
	s_cmp_lg_u64 s[14:15], 0
	s_cbranch_scc0 .LBB5_11
; %bb.4:
	s_ashr_i32 s14, s13, 31
	s_mov_b32 s25, s23
	s_mov_b32 s15, s14
	;; [unrolled: 1-line block ×3, first 2 shown]
	s_add_nc_u64 s[16:17], s[12:13], s[14:15]
	s_delay_alu instid0(SALU_CYCLE_1) | instskip(NEXT) | instid1(SALU_CYCLE_1)
	s_xor_b64 s[14:15], s[16:17], s[14:15]
	s_cvt_f32_u32 s3, s14
	s_cvt_f32_u32 s13, s15
	s_sub_nc_u64 s[18:19], 0, s[14:15]
	s_delay_alu instid0(SALU_CYCLE_2) | instskip(NEXT) | instid1(SALU_CYCLE_3)
	s_fmamk_f32 s3, s13, 0x4f800000, s3
	v_s_rcp_f32 s3, s3
	s_delay_alu instid0(TRANS32_DEP_1) | instskip(NEXT) | instid1(SALU_CYCLE_3)
	s_mul_f32 s3, s3, 0x5f7ffffc
	s_mul_f32 s13, s3, 0x2f800000
	s_delay_alu instid0(SALU_CYCLE_3) | instskip(NEXT) | instid1(SALU_CYCLE_3)
	s_trunc_f32 s13, s13
	s_fmamk_f32 s3, s13, 0xcf800000, s3
	s_cvt_u32_f32 s17, s13
	s_delay_alu instid0(SALU_CYCLE_2) | instskip(NEXT) | instid1(SALU_CYCLE_3)
	s_cvt_u32_f32 s16, s3
	s_mul_u64 s[26:27], s[18:19], s[16:17]
	s_delay_alu instid0(SALU_CYCLE_1)
	s_mul_hi_u32 s35, s16, s27
	s_mul_i32 s34, s16, s27
	s_mul_hi_u32 s24, s16, s26
	s_mul_i32 s13, s17, s26
	s_add_nc_u64 s[24:25], s[24:25], s[34:35]
	s_mul_hi_u32 s3, s17, s26
	s_mul_hi_u32 s29, s17, s27
	s_add_co_u32 s13, s24, s13
	s_add_co_ci_u32 s30, s25, s3
	s_mul_i32 s26, s17, s27
	s_add_co_ci_u32 s27, s29, 0
	s_delay_alu instid0(SALU_CYCLE_1) | instskip(SKIP_3) | instid1(SALU_CYCLE_1)
	s_add_nc_u64 s[24:25], s[30:31], s[26:27]
	s_mov_b32 s27, s23
	s_add_co_u32 s16, s16, s24
	s_cselect_b32 s3, -1, 0
	s_cmp_lg_u32 s3, 0
	s_add_co_ci_u32 s17, s17, s25
	s_mov_b32 s25, s23
	s_mul_u64 s[18:19], s[18:19], s[16:17]
	s_delay_alu instid0(SALU_CYCLE_1)
	s_mul_hi_u32 s31, s16, s19
	s_mul_i32 s30, s16, s19
	s_mul_hi_u32 s24, s16, s18
	s_mul_i32 s13, s17, s18
	s_add_nc_u64 s[24:25], s[24:25], s[30:31]
	s_mul_hi_u32 s3, s17, s18
	s_mul_hi_u32 s29, s17, s19
	s_add_co_u32 s13, s24, s13
	s_add_co_ci_u32 s26, s25, s3
	s_mul_i32 s18, s17, s19
	s_add_co_ci_u32 s19, s29, 0
	s_add_nc_u64 s[24:25], s[22:23], 0
	s_add_nc_u64 s[18:19], s[26:27], s[18:19]
	s_delay_alu instid0(SALU_CYCLE_1) | instskip(SKIP_1) | instid1(SALU_CYCLE_1)
	s_add_co_u32 s3, s16, s18
	s_cselect_b32 s13, -1, 0
	s_cmp_lg_u32 s13, 0
	s_add_co_ci_u32 s13, s17, s19
	s_xor_b64 s[16:17], s[24:25], 0
	s_mov_b32 s19, s23
	s_mul_hi_u32 s25, s16, s13
	s_mul_i32 s24, s16, s13
	s_mul_hi_u32 s26, s16, s3
	s_mul_hi_u32 s18, s17, s3
	s_mul_i32 s3, s17, s3
	s_add_nc_u64 s[24:25], s[26:27], s[24:25]
	s_mul_hi_u32 s29, s17, s13
	s_add_co_u32 s3, s24, s3
	s_add_co_ci_u32 s18, s25, s18
	s_mul_i32 s26, s17, s13
	s_add_co_ci_u32 s27, s29, 0
	s_delay_alu instid0(SALU_CYCLE_1) | instskip(NEXT) | instid1(SALU_CYCLE_1)
	s_add_nc_u64 s[18:19], s[18:19], s[26:27]
	s_and_b64 s[24:25], s[18:19], 0xffffffff00000000
	s_delay_alu instid0(SALU_CYCLE_1) | instskip(NEXT) | instid1(SALU_CYCLE_1)
	s_or_b32 s24, s24, s18
	s_mul_u64 s[18:19], s[14:15], s[24:25]
	s_delay_alu instid0(SALU_CYCLE_1)
	s_sub_co_u32 s3, s16, s18
	s_cselect_b32 s13, -1, 0
	s_sub_co_i32 s16, s17, s19
	s_cmp_lg_u32 s13, 0
	s_sub_co_ci_u32 s16, s16, s15
	s_sub_co_u32 s18, s3, s14
	s_cselect_b32 s24, -1, 0
	s_delay_alu instid0(SALU_CYCLE_1) | instskip(SKIP_1) | instid1(SALU_CYCLE_1)
	s_cmp_lg_u32 s24, 0
	s_sub_co_ci_u32 s25, s16, 0
	s_cmp_ge_u32 s25, s15
	s_cselect_b32 s26, -1, 0
	s_cmp_ge_u32 s18, s14
	s_cselect_b32 s27, -1, 0
	s_cmp_eq_u32 s25, s15
	s_cselect_b32 s26, s27, s26
	s_cmp_lg_u32 s24, 0
	s_sub_co_ci_u32 s16, s16, s15
	s_sub_co_u32 s24, s18, s14
	s_cselect_b32 s27, -1, 0
	s_delay_alu instid0(SALU_CYCLE_1)
	s_cmp_lg_u32 s27, 0
	s_sub_co_ci_u32 s16, s16, 0
	s_cmp_lg_u32 s26, 0
	s_cselect_b32 s18, s24, s18
	s_cselect_b32 s16, s16, s25
	s_cmp_lg_u32 s13, 0
	s_sub_co_ci_u32 s13, s17, s19
	s_delay_alu instid0(SALU_CYCLE_1)
	s_cmp_ge_u32 s13, s15
	s_cselect_b32 s17, -1, 0
	s_cmp_ge_u32 s3, s14
	s_cselect_b32 s14, -1, 0
	s_cmp_eq_u32 s13, s15
	s_cselect_b32 s14, s14, s17
	s_delay_alu instid0(SALU_CYCLE_1) | instskip(SKIP_2) | instid1(SALU_CYCLE_1)
	s_cmp_lg_u32 s14, 0
	s_cselect_b32 s15, s16, s13
	s_cselect_b32 s14, s18, s3
	s_xor_b64 s[14:15], s[14:15], 0
	s_delay_alu instid0(SALU_CYCLE_1)
	s_sub_nc_u64 s[24:25], s[14:15], 0
	s_and_not1_b32 vcc_lo, exec_lo, s23
	s_cbranch_vccnz .LBB5_6
.LBB5_5:
	v_cvt_f32_u32_e32 v1, s12
	s_sub_co_i32 s13, 0, s12
	s_mov_b32 s25, 0
	s_delay_alu instid0(VALU_DEP_1) | instskip(SKIP_1) | instid1(TRANS32_DEP_1)
	v_rcp_iflag_f32_e32 v1, v1
	v_nop
	v_mul_f32_e32 v1, 0x4f7ffffe, v1
	s_delay_alu instid0(VALU_DEP_1) | instskip(NEXT) | instid1(VALU_DEP_1)
	v_cvt_u32_f32_e32 v1, v1
	v_readfirstlane_b32 s3, v1
	s_mul_i32 s13, s13, s3
	s_delay_alu instid0(SALU_CYCLE_1) | instskip(NEXT) | instid1(SALU_CYCLE_1)
	s_mul_hi_u32 s13, s3, s13
	s_add_co_i32 s3, s3, s13
	s_delay_alu instid0(SALU_CYCLE_1) | instskip(NEXT) | instid1(SALU_CYCLE_1)
	s_mul_hi_u32 s3, s22, s3
	s_mul_i32 s3, s3, s12
	s_delay_alu instid0(SALU_CYCLE_1) | instskip(NEXT) | instid1(SALU_CYCLE_1)
	s_sub_co_i32 s3, s22, s3
	s_sub_co_i32 s13, s3, s12
	s_cmp_ge_u32 s3, s12
	s_cselect_b32 s3, s13, s3
	s_delay_alu instid0(SALU_CYCLE_1)
	s_sub_co_i32 s13, s3, s12
	s_cmp_ge_u32 s3, s12
	s_cselect_b32 s24, s13, s3
.LBB5_6:
	s_load_b64 s[26:27], s[0:1], 0xa0
	v_mov_b32_e32 v6, 1.0
	s_wait_kmcnt 0x0
	s_cmp_le_f32 s11, 0
	s_cbranch_scc1 .LBB5_8
; %bb.7:
	s_clause 0x1
	s_load_b32 s3, s[0:1], 0x28
	s_load_b64 s[12:13], s[0:1], 0x98
	s_add_co_i32 s14, s2, 1
	s_wait_kmcnt 0x0
	s_sub_co_i32 s11, s2, s3
	s_delay_alu instid0(SALU_CYCLE_1) | instskip(NEXT) | instid1(SALU_CYCLE_1)
	s_lshl_b32 s11, s11, 1
	s_or_b32 s11, s11, 1
	s_cmp_lt_u32 s2, s3
	s_cselect_b32 s3, s14, s11
	s_cselect_b32 s12, s12, s13
	s_cvt_f32_i32 s3, s3
	s_cmp_neq_f32 s12, 1.0
	s_delay_alu instid0(SALU_CYCLE_2) | instskip(NEXT) | instid1(SALU_CYCLE_1)
	s_cselect_b32 s11, s3, 1.0
	s_cmp_neq_f32 s11, 0
	s_cselect_b32 s3, s12, 1.0
	s_delay_alu instid0(SALU_CYCLE_1) | instskip(NEXT) | instid1(VALU_DEP_1)
	v_cvt_f64_f32_e64 v[2:3], |s3|
	v_frexp_exp_i32_f64_e32 v1, v[2:3]
	v_frexp_mant_f32_e64 v2, |s3|
	s_delay_alu instid0(VALU_DEP_1) | instskip(SKIP_2) | instid1(SALU_CYCLE_1)
	v_readfirstlane_b32 s12, v2
	s_cmp_lt_f32 s12, 0x3f2aaaab
	s_cselect_b32 vcc_lo, -1, 0
	s_and_b32 s13, vcc_lo, exec_lo
	s_cselect_b32 s13, 2.0, 1.0
	s_delay_alu instid0(SALU_CYCLE_1) | instskip(NEXT) | instid1(SALU_CYCLE_3)
	s_mul_f32 s12, s12, s13
	s_add_f32 s13, s12, 1.0
	s_add_f32 s15, s12, -1.0
	s_delay_alu instid0(SALU_CYCLE_2) | instskip(SKIP_2) | instid1(SALU_CYCLE_2)
	v_s_rcp_f32 s14, s13
	s_add_f32 s18, s13, -1.0
	v_subrev_co_ci_u32_e64 v1, null, 0, v1, vcc_lo
	s_sub_f32 s12, s12, s18
	s_delay_alu instid0(TRANS32_DEP_1) | instskip(SKIP_1) | instid1(SALU_CYCLE_2)
	s_mul_f32 s16, s15, s14
	v_cvt_f32_i32_e32 v1, v1
	s_mul_f32 s17, s13, s16
	s_delay_alu instid0(SALU_CYCLE_3) | instskip(SKIP_1) | instid1(SALU_CYCLE_1)
	v_dual_mov_b32 v3, s15 :: v_dual_mov_b32 v4, s17
	s_xor_b32 s19, s17, 0x80000000
	s_fmac_f32 s19, s16, s13
	s_delay_alu instid0(SALU_CYCLE_3) | instskip(NEXT) | instid1(SALU_CYCLE_3)
	s_fmac_f32 s19, s16, s12
	s_add_f32 s12, s17, s19
	v_mov_b32_e32 v6, s19
	s_mov_b32 s17, 0x3e76c4e1
	s_delay_alu instid0(SALU_CYCLE_1) | instskip(SKIP_1) | instid1(SALU_CYCLE_2)
	s_sub_f32 s13, s15, s12
	v_dual_mov_b32 v2, s12 :: v_dual_mov_b32 v7, s12
	v_mov_b32_e32 v5, s13
	s_delay_alu instid0(VALU_DEP_1) | instskip(NEXT) | instid1(VALU_DEP_1)
	v_pk_add_f32 v[2:3], v[2:3], v[4:5] neg_lo:[0,1] neg_hi:[0,1]
	v_pk_add_f32 v[2:3], v[2:3], v[6:7] neg_lo:[0,1] neg_hi:[0,1]
	s_delay_alu instid0(VALU_DEP_1) | instskip(NEXT) | instid1(VALU_DEP_2)
	v_readfirstlane_b32 s12, v3
	v_readfirstlane_b32 s15, v2
	s_add_f32 s12, s15, s12
	s_delay_alu instid0(SALU_CYCLE_3) | instskip(NEXT) | instid1(SALU_CYCLE_3)
	s_add_f32 s12, s13, s12
	s_mul_f32 s13, s14, s12
	s_delay_alu instid0(SALU_CYCLE_3) | instskip(NEXT) | instid1(SALU_CYCLE_3)
	s_add_f32 s12, s16, s13
	s_sub_f32 s14, s12, s16
	s_mul_f32 s15, s12, s12
	s_delay_alu instid0(SALU_CYCLE_2) | instskip(NEXT) | instid1(SALU_CYCLE_2)
	s_sub_f32 s16, s13, s14
	s_xor_b32 s13, s15, 0x80000000
	s_delay_alu instid0(SALU_CYCLE_1) | instskip(NEXT) | instid1(SALU_CYCLE_1)
	s_fmac_f32 s13, s12, s12
	s_add_f32 s14, s16, s16
	s_delay_alu instid0(SALU_CYCLE_3) | instskip(NEXT) | instid1(SALU_CYCLE_3)
	s_fmac_f32 s13, s12, s14
	s_add_f32 s14, s15, s13
	s_delay_alu instid0(SALU_CYCLE_3) | instskip(SKIP_1) | instid1(SALU_CYCLE_2)
	s_fmaak_f32 s17, s14, s17, 0x3e91f4c4
	s_sub_f32 s15, s14, s15
	s_fmaak_f32 s17, s14, s17, 0x3ecccdef
	s_delay_alu instid0(SALU_CYCLE_2) | instskip(NEXT) | instid1(SALU_CYCLE_2)
	s_sub_f32 s23, s13, s15
	s_mul_f32 s18, s14, s17
	s_delay_alu instid0(SALU_CYCLE_3) | instskip(NEXT) | instid1(SALU_CYCLE_1)
	s_xor_b32 s19, s18, 0x80000000
	s_fmac_f32 s19, s14, s17
	s_delay_alu instid0(SALU_CYCLE_3) | instskip(NEXT) | instid1(SALU_CYCLE_3)
	s_fmac_f32 s19, s23, s17
	s_add_f32 s15, s18, s19
	s_delay_alu instid0(SALU_CYCLE_3) | instskip(SKIP_1) | instid1(SALU_CYCLE_2)
	s_sub_f32 s13, s15, s18
	s_add_f32 s17, s15, 0x3f2aaaaa
	s_sub_f32 s13, s19, s13
	s_delay_alu instid0(SALU_CYCLE_2) | instskip(NEXT) | instid1(SALU_CYCLE_2)
	s_add_f32 s18, s17, 0xbf2aaaaa
	s_add_f32 s13, s13, 0x31739010
	s_delay_alu instid0(SALU_CYCLE_2) | instskip(NEXT) | instid1(SALU_CYCLE_2)
	s_sub_f32 s15, s15, s18
	v_mov_b64_e32 v[2:3], s[12:13]
	s_delay_alu instid0(SALU_CYCLE_2) | instskip(NEXT) | instid1(VALU_DEP_1)
	v_mov_b64_e32 v[4:5], s[14:15]
	v_pk_mul_f32 v[6:7], v[2:3], v[4:5]
	v_pk_add_f32 v[2:3], v[2:3], v[4:5]
	v_mov_b32_e32 v9, s17
	s_delay_alu instid0(VALU_DEP_3) | instskip(NEXT) | instid1(VALU_DEP_3)
	v_xor_b32_e32 v8, 0x80000000, v6
	v_mov_b32_e32 v7, v3
	s_delay_alu instid0(VALU_DEP_2) | instskip(NEXT) | instid1(VALU_DEP_1)
	v_fmac_f32_e64 v8, s14, s12
	v_fmac_f32_e64 v8, s14, s16
	s_delay_alu instid0(VALU_DEP_1) | instskip(NEXT) | instid1(VALU_DEP_1)
	v_fmac_f32_e64 v8, s23, s12
	v_pk_add_f32 v[4:5], v[6:7], v[8:9]
	s_delay_alu instid0(VALU_DEP_1) | instskip(SKIP_1) | instid1(VALU_DEP_2)
	v_dual_mov_b32 v2, v5 :: v_dual_sub_f32 v7, s17, v5
	v_mul_f32_e32 v12, 0x3f317218, v1
	v_pk_mul_f32 v[10:11], v[4:5], v[2:3]
	s_delay_alu instid0(VALU_DEP_3) | instskip(NEXT) | instid1(VALU_DEP_3)
	v_add_f32_e32 v3, v3, v7
	v_xor_b32_e32 v7, 0x80000000, v12
	s_delay_alu instid0(VALU_DEP_3) | instskip(NEXT) | instid1(VALU_DEP_2)
	v_xor_b32_e32 v2, 0x80000000, v10
	v_dual_sub_f32 v6, v4, v6 :: v_dual_fmac_f32 v7, 0x3f317218, v1
	s_delay_alu instid0(VALU_DEP_2) | instskip(NEXT) | instid1(VALU_DEP_2)
	v_fmac_f32_e32 v2, v4, v5
	v_sub_f32_e32 v6, v8, v6
	s_delay_alu instid0(VALU_DEP_2) | instskip(NEXT) | instid1(VALU_DEP_1)
	v_fmac_f32_e32 v2, v4, v3
	v_fmac_f32_e32 v2, v6, v5
	v_fmamk_f32 v4, v1, 0xb102e308, v7
	v_ldexp_f32 v5, s12, 1
	v_ldexp_f32 v1, s16, 1
	s_delay_alu instid0(VALU_DEP_2) | instskip(NEXT) | instid1(VALU_DEP_1)
	v_dual_add_f32 v13, v10, v2 :: v_dual_mov_b32 v11, v5
	v_pk_add_f32 v[6:7], v[12:13], v[4:5]
	v_dual_mov_b32 v8, v13 :: v_dual_mov_b32 v3, v13
	s_delay_alu instid0(VALU_DEP_2) | instskip(SKIP_1) | instid1(VALU_DEP_2)
	v_dual_mov_b32 v9, v7 :: v_dual_mov_b32 v5, v6
	v_mov_b32_e32 v14, v7
	v_pk_add_f32 v[8:9], v[8:9], v[10:11] neg_lo:[0,1] neg_hi:[0,1]
	s_delay_alu instid0(VALU_DEP_1) | instskip(NEXT) | instid1(VALU_DEP_1)
	v_pk_add_f32 v[2:3], v[2:3], v[8:9] neg_lo:[0,1] neg_hi:[0,1]
	v_add_f32_e32 v1, v1, v2
	s_delay_alu instid0(VALU_DEP_1) | instskip(NEXT) | instid1(VALU_DEP_1)
	v_add_f32_e32 v13, v1, v3
	v_pk_add_f32 v[2:3], v[6:7], v[12:13]
	v_pk_add_f32 v[8:9], v[6:7], v[12:13] neg_lo:[0,1] neg_hi:[0,1]
	s_delay_alu instid0(VALU_DEP_2) | instskip(NEXT) | instid1(VALU_DEP_1)
	v_mov_b32_e32 v9, v3
	v_pk_add_f32 v[10:11], v[4:5], v[8:9]
	v_pk_add_f32 v[4:5], v[4:5], v[8:9] neg_lo:[0,1] neg_hi:[0,1]
	v_dual_mov_b32 v16, v3 :: v_dual_mov_b32 v5, v6
	s_delay_alu instid0(VALU_DEP_3) | instskip(NEXT) | instid1(VALU_DEP_3)
	v_dual_mov_b32 v12, v11 :: v_dual_mov_b32 v17, v11
	v_readfirstlane_b32 s12, v4
	s_delay_alu instid0(VALU_DEP_2) | instskip(NEXT) | instid1(VALU_DEP_2)
	v_pk_add_f32 v[8:9], v[12:13], v[6:7] neg_lo:[0,1] neg_hi:[0,1]
	v_dual_mov_b32 v4, v13 :: v_dual_mov_b32 v10, s12
	s_delay_alu instid0(VALU_DEP_2) | instskip(NEXT) | instid1(VALU_DEP_1)
	v_dual_mov_b32 v15, v8 :: v_dual_mov_b32 v1, v8
	v_pk_add_f32 v[6:7], v[16:17], v[14:15] neg_lo:[0,1] neg_hi:[0,1]
	s_delay_alu instid0(VALU_DEP_2) | instskip(SKIP_1) | instid1(VALU_DEP_3)
	v_pk_add_f32 v[2:3], v[2:3], v[0:1] neg_lo:[0,1] neg_hi:[0,1]
	v_mov_b32_e32 v2, s12
	v_pk_add_f32 v[4:5], v[4:5], v[6:7] neg_lo:[0,1] neg_hi:[0,1]
	s_delay_alu instid0(VALU_DEP_1) | instskip(NEXT) | instid1(VALU_DEP_1)
	v_pk_add_f32 v[2:3], v[2:3], v[4:5]
	v_readfirstlane_b32 s13, v2
	s_delay_alu instid0(VALU_DEP_2) | instskip(NEXT) | instid1(VALU_DEP_1)
	v_mov_b32_e32 v6, v3
	v_pk_add_f32 v[6:7], v[2:3], v[6:7]
	s_delay_alu instid0(VALU_DEP_3) | instskip(NEXT) | instid1(VALU_DEP_2)
	v_mov_b32_e32 v2, s13
	v_pk_add_f32 v[8:9], v[12:13], v[6:7]
	v_mov_b32_e32 v5, v6
	s_delay_alu instid0(VALU_DEP_2) | instskip(NEXT) | instid1(VALU_DEP_1)
	v_readfirstlane_b32 s14, v8
	v_mov_b32_e32 v3, s14
	s_delay_alu instid0(VALU_DEP_1) | instskip(NEXT) | instid1(VALU_DEP_1)
	v_pk_add_f32 v[2:3], v[2:3], v[10:11] neg_lo:[0,1] neg_hi:[0,1]
	v_readfirstlane_b32 s15, v2
	s_delay_alu instid0(VALU_DEP_2) | instskip(SKIP_1) | instid1(VALU_DEP_1)
	v_pk_add_f32 v[2:3], v[4:5], v[2:3] neg_lo:[0,1] neg_hi:[0,1]
	s_sub_f32 s13, s13, s15
	v_readfirstlane_b32 s15, v2
	s_delay_alu instid0(SALU_CYCLE_2) | instskip(SKIP_1) | instid1(SALU_CYCLE_2)
	s_sub_f32 s12, s12, s13
	v_readfirstlane_b32 s13, v3
	s_add_f32 s12, s15, s12
	s_delay_alu instid0(SALU_CYCLE_3) | instskip(NEXT) | instid1(SALU_CYCLE_3)
	s_add_f32 s12, s12, s13
	s_add_f32 s13, s14, s12
	s_delay_alu instid0(SALU_CYCLE_3) | instskip(SKIP_1) | instid1(SALU_CYCLE_2)
	s_mul_f32 s15, s11, s13
	s_sub_f32 s14, s13, s14
	s_xor_b32 s16, s15, 0x80000000
	s_delay_alu instid0(SALU_CYCLE_2) | instskip(SKIP_1) | instid1(SALU_CYCLE_3)
	s_sub_f32 s12, s12, s14
	s_fmac_f32 s16, s11, s13
	s_fmac_f32 s16, s11, s12
	v_cmp_class_f32_e64 s12, s15, 0x204
	s_delay_alu instid0(SALU_CYCLE_2) | instskip(SKIP_1) | instid1(SALU_CYCLE_2)
	s_add_f32 s13, s15, s16
	s_and_b32 s12, s12, exec_lo
	s_sub_f32 s12, s13, s15
	s_cselect_b32 s13, s15, s13
	s_delay_alu instid0(SALU_CYCLE_1) | instskip(NEXT) | instid1(SALU_CYCLE_1)
	s_and_b32 s14, s13, 0x7fffffff
	s_sub_f32 s12, s16, s12
	s_cmp_neq_f32 s14, 0x7f800000
	s_delay_alu instid0(SALU_CYCLE_2) | instskip(SKIP_2) | instid1(SALU_CYCLE_1)
	s_cselect_b32 s12, s12, 0
	s_cmp_eq_f32 s13, 0x42b17218
	s_cselect_b32 s14, 0x37000000, 0
	s_sub_f32 s13, s13, s14
	s_add_f32 s12, s14, s12
	s_delay_alu instid0(SALU_CYCLE_2) | instskip(NEXT) | instid1(SALU_CYCLE_3)
	s_mul_f32 s15, s13, 0x3fb8aa3b
	s_xor_b32 s16, s15, 0x80000000
	s_rndne_f32 s17, s15
	s_fmamk_f32 s16, s13, 0x3fb8aa3b, s16
	s_cmp_nlt_f32 s13, 0xc2ce8ed0
	s_delay_alu instid0(SALU_CYCLE_1) | instskip(NEXT) | instid1(SALU_CYCLE_1)
	s_sub_f32 s15, s15, s17
	s_fmamk_f32 s16, s13, 0x32a5705f, s16
	s_cselect_b32 vcc_lo, -1, 0
	s_cmp_ngt_f32 s13, 0x42b17218
	s_trunc_f32 s13, s11
	s_add_f32 s15, s15, s16
	s_cvt_i32_f32 s16, s17
	s_delay_alu instid0(SALU_CYCLE_2)
	v_s_exp_f32 s15, s15
	v_nop
	s_delay_alu instid0(TRANS32_DEP_1) | instid1(SALU_CYCLE_1)
	v_ldexp_f32 v1, s15, s16
	s_mul_f32 s15, s11, 0.5
	s_delay_alu instid0(VALU_DEP_1) | instskip(SKIP_3) | instid1(VALU_DEP_1)
	v_cndmask_b32_e32 v1, 0, v1, vcc_lo
	s_cselect_b32 vcc_lo, -1, 0
	s_cmp_eq_f32 s13, s11
	s_trunc_f32 s16, s15
	v_cndmask_b32_e32 v1, 0x7f800000, v1, vcc_lo
	s_cselect_b32 s17, -1, 0
	s_delay_alu instid0(SALU_CYCLE_1) | instskip(NEXT) | instid1(VALU_DEP_1)
	s_cmp_neq_f32 s16, s15
	v_fma_f32 v2, s12, v1, v1
	v_cmp_class_f32_e64 vcc_lo, v1, 0x204
	s_cselect_b32 s14, -1, 0
	s_delay_alu instid0(SALU_CYCLE_1)
	s_and_b32 s12, s17, s14
	v_cndmask_b32_e32 v1, v2, v1, vcc_lo
	s_and_b32 s14, s12, exec_lo
	s_cselect_b32 s14, s3, 1.0
	s_cmp_eq_f32 s13, s11
	v_cmp_class_f32_e64 s13, s3, 0x204
	v_bfi_b32 v1, 0x7fffffff, v1, s14
	s_cselect_b32 vcc_lo, -1, 0
	s_cmp_lt_f32 s3, 0
	s_delay_alu instid0(VALU_DEP_1) | instskip(SKIP_2) | instid1(VALU_DEP_1)
	v_cndmask_b32_e32 v2, 0x7fc00000, v1, vcc_lo
	s_cselect_b32 vcc_lo, -1, 0
	s_cmp_eq_f32 s3, 0
	v_cndmask_b32_e32 v1, v1, v2, vcc_lo
	s_cselect_b32 s14, -1, 0
	s_delay_alu instid0(SALU_CYCLE_1) | instskip(SKIP_2) | instid1(SALU_CYCLE_1)
	s_or_b32 vcc_lo, s14, s13
	s_cmp_lt_f32 s11, 0
	s_cselect_b32 s11, -1, 0
	s_xor_b32 s11, s11, s14
	s_delay_alu instid0(SALU_CYCLE_1)
	s_and_b32 s11, s11, exec_lo
	s_cselect_b32 s11, 0, 0x7f800000
	s_and_b32 s12, s12, exec_lo
	s_cselect_b32 s12, s3, 0
	s_cmp_o_f32 s3, s3
	v_mov_b32_e32 v2, s12
	s_delay_alu instid0(VALU_DEP_1) | instskip(NEXT) | instid1(VALU_DEP_1)
	v_bfi_b32 v2, 0x7fffffff, s11, v2
	v_cndmask_b32_e32 v1, v1, v2, vcc_lo
	s_cselect_b32 vcc_lo, -1, 0
	s_delay_alu instid0(VALU_DEP_1)
	v_cndmask_b32_e32 v6, 0x7fc00000, v1, vcc_lo
.LBB5_8:
	s_load_b256 s[12:19], s[0:1], 0x0
	s_wait_kmcnt 0x0
	s_cmp_lg_u64 s[16:17], 0
	s_cselect_b32 s3, -1, 0
	s_cmp_eq_u64 s[16:17], 0
	s_cbranch_scc1 .LBB5_12
; %bb.9:
	s_load_b32 s11, s[16:17], s2 offset:0x0 scale_offset
	s_branch .LBB5_13
.LBB5_10:
                                        ; implicit-def: $sgpr20_sgpr21
	s_branch .LBB5_2
.LBB5_11:
                                        ; implicit-def: $sgpr24_sgpr25
	s_branch .LBB5_5
.LBB5_12:
	s_mov_b32 s11, 0xff800000
.LBB5_13:
	s_bfe_u32 s0, ttmp6, 0x4000c
	s_and_b32 s1, ttmp6, 15
	s_add_co_i32 s0, s0, 1
	s_mul_i32 s22, s27, s22
	s_mul_i32 s0, ttmp9, s0
	v_dual_mov_b32 v3, 0 :: v_dual_lshlrev_b32 v2, 2, v0
	s_add_co_i32 s1, s1, s0
	s_cmp_eq_u32 s28, 0
	s_cselect_b32 s0, ttmp9, s1
	s_add_co_i32 s1, s22, s2
	s_delay_alu instid0(SALU_CYCLE_1) | instskip(NEXT) | instid1(SALU_CYCLE_1)
	s_mul_i32 s1, s1, s26
	s_add_co_i32 s22, s1, s0
	s_mov_b32 s1, 0
	s_ashr_i32 s23, s22, 31
	s_mul_u64 s[0:1], s[4:5], s[0:1]
	s_lshl_b64 s[26:27], s[22:23], 13
	s_mul_u64 s[4:5], s[20:21], s[6:7]
	s_add_nc_u64 s[12:13], s[12:13], s[26:27]
	s_add_nc_u64 s[0:1], s[4:5], s[0:1]
	global_load_b32 v1, v0, s[12:13] scale_offset
	s_mul_u64 s[4:5], s[24:25], s[8:9]
	v_add_nc_u64_e32 v[4:5], s[12:13], v[2:3]
	s_add_nc_u64 s[0:1], s[0:1], s[4:5]
	v_mov_b32_e32 v2, 0
	s_lshr_b64 s[0:1], s[0:1], 1
	s_cmp_lg_u64 s[14:15], 0
	s_cselect_b32 s4, -1, 0
	s_delay_alu instid0(SALU_CYCLE_1) | instskip(SKIP_2) | instid1(SALU_CYCLE_1)
	s_and_b32 vcc_lo, s4, exec_lo
	s_cselect_b32 s1, s1, 0
	s_cselect_b32 s0, s0, 0
	s_lshl_b64 s[0:1], s[0:1], 1
	s_delay_alu instid0(SALU_CYCLE_1)
	s_add_nc_u64 s[0:1], s[14:15], s[0:1]
	s_cbranch_vccz .LBB5_15
; %bb.14:
	global_load_u16 v2, v0, s[0:1] scale_offset
	s_wait_loadcnt 0x0
	v_cvt_f32_f16_e32 v2, v2
	s_delay_alu instid0(VALU_DEP_1)
	v_mul_f32_e32 v2, v6, v2
.LBB5_15:
	global_load_b32 v4, v[4:5], off offset:4096
	s_wait_loadcnt 0x1
	v_fmac_f32_e32 v2, s10, v1
	v_lshl_add_u32 v1, v0, 2, 0
	s_and_not1_b32 vcc_lo, exec_lo, s4
	ds_store_b32 v1, v2 offset:128
	s_cbranch_vccnz .LBB5_17
; %bb.16:
	global_load_u16 v3, v0, s[0:1] offset:2048 scale_offset
	s_wait_loadcnt 0x0
	v_cvt_f32_f16_e32 v3, v3
	s_delay_alu instid0(VALU_DEP_1)
	v_mul_f32_e32 v3, v6, v3
.LBB5_17:
	v_mbcnt_lo_u32_b32 v7, -1, 0
	s_wait_loadcnt 0x0
	s_delay_alu instid0(VALU_DEP_1)
	v_dual_fmac_f32 v3, s10, v4 :: v_dual_bitop2_b32 v5, 16, v7 bitop3:0x14
	ds_store_b32 v1, v3 offset:4224
	v_xor_b32_e32 v6, 8, v7
	v_cmp_gt_i32_e32 vcc_lo, 32, v5
	v_cndmask_b32_e32 v4, v7, v5, vcc_lo
	s_wait_kmcnt 0x0
	v_max3_num_f32 v5, s11, v2, v3
	v_cmp_gt_i32_e32 vcc_lo, 32, v6
	s_delay_alu instid0(VALU_DEP_3) | instskip(SKIP_3) | instid1(VALU_DEP_1)
	v_dual_lshlrev_b32 v2, 2, v4 :: v_dual_cndmask_b32 v6, v7, v6, vcc_lo
	ds_bpermute_b32 v4, v2, v5
	s_wait_dscnt 0x0
	v_dual_max_num_f32 v8, v4, v4 :: v_dual_lshlrev_b32 v4, 2, v6
	v_dual_max_num_f32 v6, v5, v8 :: v_dual_bitop2_b32 v8, 4, v7 bitop3:0x14
	ds_bpermute_b32 v5, v4, v6
	v_cmp_gt_i32_e32 vcc_lo, 32, v8
	s_wait_dscnt 0x0
	v_dual_cndmask_b32 v8, v7, v8 :: v_dual_max_num_f32 v9, v5, v5
	s_delay_alu instid0(VALU_DEP_1) | instskip(SKIP_3) | instid1(VALU_DEP_1)
	v_dual_max_num_f32 v8, v6, v9 :: v_dual_lshlrev_b32 v5, 2, v8
	ds_bpermute_b32 v6, v5, v8
	s_wait_dscnt 0x0
	v_dual_max_num_f32 v10, v6, v6 :: v_dual_bitop2_b32 v9, 2, v7 bitop3:0x14
	v_cmp_gt_i32_e32 vcc_lo, 32, v9
	s_delay_alu instid0(VALU_DEP_2) | instskip(NEXT) | instid1(VALU_DEP_1)
	v_dual_max_num_f32 v8, v8, v10 :: v_dual_cndmask_b32 v9, v7, v9
	v_dual_lshlrev_b32 v6, 2, v9 :: v_dual_bitop2_b32 v10, 1, v7 bitop3:0x14
	s_delay_alu instid0(VALU_DEP_1) | instskip(SKIP_3) | instid1(VALU_DEP_1)
	v_cmp_gt_i32_e32 vcc_lo, 32, v10
	ds_bpermute_b32 v9, v6, v8
	v_cndmask_b32_e32 v7, v7, v10, vcc_lo
	s_wait_dscnt 0x0
	v_dual_lshlrev_b32 v7, 2, v7 :: v_dual_max_num_f32 v9, v9, v9
	s_delay_alu instid0(VALU_DEP_1) | instskip(SKIP_4) | instid1(SALU_CYCLE_1)
	v_dual_max_num_f32 v10, v8, v9 :: v_dual_bitop2_b32 v9, 31, v0 bitop3:0x40
	v_lshrrev_b32_e32 v8, 3, v0
	ds_bpermute_b32 v11, v7, v10
	v_cmp_eq_u32_e32 vcc_lo, 0, v9
	s_and_saveexec_b32 s0, vcc_lo
	s_xor_b32 s0, exec_lo, s0
	s_cbranch_execz .LBB5_19
; %bb.18:
	s_wait_dscnt 0x0
	v_dual_max_num_f32 v3, v11, v11 :: v_dual_max_num_f32 v10, v10, v10
	s_delay_alu instid0(VALU_DEP_1)
	v_dual_max_num_f32 v3, v10, v3 :: v_dual_add_nc_u32 v10, 0, v8
	ds_store_b32 v10, v3
.LBB5_19:
	s_or_b32 exec_lo, exec_lo, s0
	v_lshl_add_u32 v3, v9, 2, 0
	s_wait_dscnt 0x0
	s_barrier_signal -1
	s_barrier_wait -1
	ds_load_b32 v9, v3
	v_add_nc_u32_e32 v13, 0x80, v1
	s_wait_dscnt 0x0
	ds_bpermute_b32 v10, v2, v9
	s_wait_dscnt 0x0
	v_dual_max_num_f32 v9, v9, v9 :: v_dual_max_num_f32 v10, v10, v10
	s_delay_alu instid0(VALU_DEP_1) | instskip(SKIP_3) | instid1(VALU_DEP_1)
	v_max_num_f32_e32 v9, v9, v10
	ds_bpermute_b32 v10, v4, v9
	s_wait_dscnt 0x0
	v_max_num_f32_e32 v10, v10, v10
	v_max_num_f32_e32 v9, v9, v10
	ds_bpermute_b32 v10, v5, v9
	s_wait_dscnt 0x0
	v_max_num_f32_e32 v10, v10, v10
	s_delay_alu instid0(VALU_DEP_1) | instskip(SKIP_3) | instid1(VALU_DEP_1)
	v_max_num_f32_e32 v9, v9, v10
	ds_bpermute_b32 v10, v6, v9
	s_wait_dscnt 0x0
	v_max_num_f32_e32 v10, v10, v10
	v_max_num_f32_e32 v9, v9, v10
	ds_load_2addr_stride64_b32 v[10:11], v13 offset1:16
	ds_bpermute_b32 v12, v7, v9
	s_wait_dscnt 0x0
	v_max_num_f32_e32 v12, v12, v12
	s_delay_alu instid0(VALU_DEP_1) | instskip(NEXT) | instid1(VALU_DEP_1)
	v_max_num_f32_e32 v9, v9, v12
	v_sub_f32_e32 v10, v10, v9
	s_delay_alu instid0(VALU_DEP_1) | instskip(SKIP_1) | instid1(VALU_DEP_2)
	v_dual_mul_f32 v12, 0x3fb8aa3b, v10 :: v_dual_sub_f32 v11, v11, v9
	v_cmp_ngt_f32_e64 s0, 0xc2ce8ed0, v10
	v_fma_f32 v15, 0x3fb8aa3b, v10, -v12
	s_delay_alu instid0(VALU_DEP_3) | instskip(SKIP_1) | instid1(VALU_DEP_2)
	v_mul_f32_e32 v14, 0x3fb8aa3b, v11
	v_rndne_f32_e32 v16, v12
	v_fma_f32 v17, 0x3fb8aa3b, v11, -v14
	v_rndne_f32_e32 v18, v14
	s_delay_alu instid0(VALU_DEP_2) | instskip(NEXT) | instid1(VALU_DEP_2)
	v_dual_sub_f32 v12, v12, v16 :: v_dual_fmac_f32 v17, 0x32a5705f, v11
	v_sub_f32_e32 v14, v14, v18
	s_delay_alu instid0(VALU_DEP_1) | instskip(NEXT) | instid1(VALU_DEP_1)
	v_dual_fmac_f32 v15, 0x32a5705f, v10 :: v_dual_add_f32 v14, v14, v17
	v_add_f32_e32 v12, v12, v15
	v_cvt_i32_f32_e32 v15, v16
	v_cvt_i32_f32_e32 v16, v18
	s_delay_alu instid0(VALU_DEP_4) | instskip(NEXT) | instid1(VALU_DEP_3)
	v_exp_f32_e32 v14, v14
	v_exp_f32_e32 v12, v12
	s_delay_alu instid0(TRANS32_DEP_2) | instskip(NEXT) | instid1(TRANS32_DEP_1)
	v_ldexp_f32 v14, v14, v16
	v_ldexp_f32 v12, v12, v15
	s_delay_alu instid0(VALU_DEP_1) | instskip(SKIP_1) | instid1(VALU_DEP_1)
	v_cndmask_b32_e64 v12, 0, v12, s0
	v_cmp_ngt_f32_e64 s0, 0xc2ce8ed0, v11
	v_cndmask_b32_e64 v14, 0, v14, s0
	v_cmp_nlt_f32_e64 s0, 0x42b17218, v10
	s_delay_alu instid0(VALU_DEP_1) | instskip(SKIP_1) | instid1(VALU_DEP_1)
	v_cndmask_b32_e64 v12, 0x7f800000, v12, s0
	v_cmp_nlt_f32_e64 s0, 0x42b17218, v11
	v_cndmask_b32_e64 v14, 0x7f800000, v14, s0
	s_delay_alu instid0(VALU_DEP_1)
	v_add_f32_e32 v10, v12, v14
	ds_store_2addr_stride64_b32 v13, v12, v14 offset1:16
	ds_bpermute_b32 v11, v2, v10
	s_wait_dscnt 0x0
	v_add_f32_e32 v10, v10, v11
	ds_bpermute_b32 v11, v4, v10
	s_wait_dscnt 0x0
	v_add_f32_e32 v10, v10, v11
	;; [unrolled: 3-line block ×4, first 2 shown]
	ds_bpermute_b32 v11, v7, v10
	s_and_saveexec_b32 s0, vcc_lo
	s_cbranch_execz .LBB5_21
; %bb.20:
	s_wait_dscnt 0x0
	v_dual_add_f32 v10, v10, v11 :: v_dual_add_nc_u32 v8, 0, v8
	ds_store_b32 v8, v10
.LBB5_21:
	s_or_b32 exec_lo, exec_lo, s0
	s_wait_dscnt 0x0
	s_barrier_signal -1
	s_barrier_wait -1
	ds_load_b32 v3, v3
	s_and_not1_b32 vcc_lo, exec_lo, s3
	s_lshl_b64 s[0:1], s[22:23], 11
	s_wait_dscnt 0x0
	ds_bpermute_b32 v2, v2, v3
	s_wait_dscnt 0x0
	v_add_f32_e32 v2, v3, v2
	ds_bpermute_b32 v3, v4, v2
	s_wait_dscnt 0x0
	v_add_f32_e32 v2, v2, v3
	;; [unrolled: 3-line block ×5, first 2 shown]
	s_cbranch_vccnz .LBB5_23
; %bb.22:
	s_load_b32 s2, s[16:17], s2 offset:0x0 scale_offset
	s_wait_kmcnt 0x0
	v_sub_f32_e32 v3, s2, v9
	s_delay_alu instid0(VALU_DEP_1) | instskip(NEXT) | instid1(VALU_DEP_1)
	v_mul_f32_e32 v4, 0x3fb8aa3b, v3
	v_fma_f32 v5, 0x3fb8aa3b, v3, -v4
	v_rndne_f32_e32 v6, v4
	s_delay_alu instid0(VALU_DEP_1) | instskip(SKIP_1) | instid1(VALU_DEP_4)
	v_sub_f32_e32 v4, v4, v6
	v_cmp_ngt_f32_e32 vcc_lo, 0xc2ce8ed0, v3
	v_fmamk_f32 v5, v3, 0x32a5705f, v5
	s_delay_alu instid0(VALU_DEP_1) | instskip(SKIP_1) | instid1(VALU_DEP_2)
	v_add_f32_e32 v4, v4, v5
	v_cvt_i32_f32_e32 v5, v6
	v_exp_f32_e32 v4, v4
	v_nop
	s_delay_alu instid0(TRANS32_DEP_1) | instskip(NEXT) | instid1(VALU_DEP_1)
	v_ldexp_f32 v4, v4, v5
	v_cndmask_b32_e32 v4, 0, v4, vcc_lo
	v_cmp_nlt_f32_e32 vcc_lo, 0x42b17218, v3
	s_delay_alu instid0(VALU_DEP_2) | instskip(NEXT) | instid1(VALU_DEP_1)
	v_cndmask_b32_e32 v3, 0x7f800000, v4, vcc_lo
	v_add_f32_e32 v2, v2, v3
.LBB5_23:
	s_delay_alu instid0(VALU_DEP_1)
	v_div_scale_f32 v3, null, v2, v2, 1.0
	v_div_scale_f32 v7, vcc_lo, 1.0, v2, 1.0
	s_lshl_b64 s[0:1], s[0:1], 2
	v_rcp_f32_e32 v6, v3
	s_add_nc_u64 s[0:1], s[18:19], s[0:1]
	v_add_nc_u32_e32 v1, 0x80, v1
	s_delay_alu instid0(TRANS32_DEP_1) | instskip(NEXT) | instid1(VALU_DEP_1)
	v_fma_f32 v4, -v3, v6, 1.0
	v_fmac_f32_e32 v6, v4, v6
	ds_load_2addr_stride64_b32 v[4:5], v1 offset1:16
	v_mul_f32_e32 v8, v7, v6
	s_delay_alu instid0(VALU_DEP_1) | instskip(NEXT) | instid1(VALU_DEP_1)
	v_fma_f32 v9, -v3, v8, v7
	v_fmac_f32_e32 v8, v9, v6
	s_delay_alu instid0(VALU_DEP_1) | instskip(NEXT) | instid1(VALU_DEP_1)
	v_fma_f32 v1, -v3, v8, v7
	v_div_fmas_f32 v1, v1, v6, v8
	s_delay_alu instid0(VALU_DEP_1) | instskip(SKIP_1) | instid1(VALU_DEP_1)
	v_div_fixup_f32 v1, v1, v2, 1.0
	s_wait_dscnt 0x0
	v_dual_mul_f32 v2, v1, v4 :: v_dual_mul_f32 v1, v1, v5
	s_clause 0x1
	global_store_b32 v0, v2, s[0:1] scale_offset
	global_store_b32 v0, v1, s[0:1] offset:4096 scale_offset
	s_endpgm
	.section	.rodata,"a",@progbits
	.p2align	6, 0x0
	.amdhsa_kernel _ZL12soft_max_f32ILb1ELi2048ELi1024E6__halfEvPKfPKT2_S2_Pf15soft_max_params
		.amdhsa_group_segment_fixed_size 0
		.amdhsa_private_segment_fixed_size 0
		.amdhsa_kernarg_size 416
		.amdhsa_user_sgpr_count 2
		.amdhsa_user_sgpr_dispatch_ptr 0
		.amdhsa_user_sgpr_queue_ptr 0
		.amdhsa_user_sgpr_kernarg_segment_ptr 1
		.amdhsa_user_sgpr_dispatch_id 0
		.amdhsa_user_sgpr_kernarg_preload_length 0
		.amdhsa_user_sgpr_kernarg_preload_offset 0
		.amdhsa_user_sgpr_private_segment_size 0
		.amdhsa_wavefront_size32 1
		.amdhsa_uses_dynamic_stack 0
		.amdhsa_enable_private_segment 0
		.amdhsa_system_sgpr_workgroup_id_x 1
		.amdhsa_system_sgpr_workgroup_id_y 1
		.amdhsa_system_sgpr_workgroup_id_z 1
		.amdhsa_system_sgpr_workgroup_info 0
		.amdhsa_system_vgpr_workitem_id 0
		.amdhsa_next_free_vgpr 19
		.amdhsa_next_free_sgpr 36
		.amdhsa_named_barrier_count 0
		.amdhsa_reserve_vcc 1
		.amdhsa_float_round_mode_32 0
		.amdhsa_float_round_mode_16_64 0
		.amdhsa_float_denorm_mode_32 3
		.amdhsa_float_denorm_mode_16_64 3
		.amdhsa_fp16_overflow 0
		.amdhsa_memory_ordered 1
		.amdhsa_forward_progress 1
		.amdhsa_inst_pref_size 36
		.amdhsa_round_robin_scheduling 0
		.amdhsa_exception_fp_ieee_invalid_op 0
		.amdhsa_exception_fp_denorm_src 0
		.amdhsa_exception_fp_ieee_div_zero 0
		.amdhsa_exception_fp_ieee_overflow 0
		.amdhsa_exception_fp_ieee_underflow 0
		.amdhsa_exception_fp_ieee_inexact 0
		.amdhsa_exception_int_div_zero 0
	.end_amdhsa_kernel
	.section	.text._ZL12soft_max_f32ILb1ELi2048ELi1024E6__halfEvPKfPKT2_S2_Pf15soft_max_params,"axG",@progbits,_ZL12soft_max_f32ILb1ELi2048ELi1024E6__halfEvPKfPKT2_S2_Pf15soft_max_params,comdat
.Lfunc_end5:
	.size	_ZL12soft_max_f32ILb1ELi2048ELi1024E6__halfEvPKfPKT2_S2_Pf15soft_max_params, .Lfunc_end5-_ZL12soft_max_f32ILb1ELi2048ELi1024E6__halfEvPKfPKT2_S2_Pf15soft_max_params
                                        ; -- End function
	.set _ZL12soft_max_f32ILb1ELi2048ELi1024E6__halfEvPKfPKT2_S2_Pf15soft_max_params.num_vgpr, 19
	.set _ZL12soft_max_f32ILb1ELi2048ELi1024E6__halfEvPKfPKT2_S2_Pf15soft_max_params.num_agpr, 0
	.set _ZL12soft_max_f32ILb1ELi2048ELi1024E6__halfEvPKfPKT2_S2_Pf15soft_max_params.numbered_sgpr, 36
	.set _ZL12soft_max_f32ILb1ELi2048ELi1024E6__halfEvPKfPKT2_S2_Pf15soft_max_params.num_named_barrier, 0
	.set _ZL12soft_max_f32ILb1ELi2048ELi1024E6__halfEvPKfPKT2_S2_Pf15soft_max_params.private_seg_size, 0
	.set _ZL12soft_max_f32ILb1ELi2048ELi1024E6__halfEvPKfPKT2_S2_Pf15soft_max_params.uses_vcc, 1
	.set _ZL12soft_max_f32ILb1ELi2048ELi1024E6__halfEvPKfPKT2_S2_Pf15soft_max_params.uses_flat_scratch, 0
	.set _ZL12soft_max_f32ILb1ELi2048ELi1024E6__halfEvPKfPKT2_S2_Pf15soft_max_params.has_dyn_sized_stack, 0
	.set _ZL12soft_max_f32ILb1ELi2048ELi1024E6__halfEvPKfPKT2_S2_Pf15soft_max_params.has_recursion, 0
	.set _ZL12soft_max_f32ILb1ELi2048ELi1024E6__halfEvPKfPKT2_S2_Pf15soft_max_params.has_indirect_call, 0
	.section	.AMDGPU.csdata,"",@progbits
; Kernel info:
; codeLenInByte = 4556
; TotalNumSgprs: 38
; NumVgprs: 19
; ScratchSize: 0
; MemoryBound: 0
; FloatMode: 240
; IeeeMode: 1
; LDSByteSize: 0 bytes/workgroup (compile time only)
; SGPRBlocks: 0
; VGPRBlocks: 1
; NumSGPRsForWavesPerEU: 38
; NumVGPRsForWavesPerEU: 19
; NamedBarCnt: 0
; Occupancy: 16
; WaveLimiterHint : 1
; COMPUTE_PGM_RSRC2:SCRATCH_EN: 0
; COMPUTE_PGM_RSRC2:USER_SGPR: 2
; COMPUTE_PGM_RSRC2:TRAP_HANDLER: 0
; COMPUTE_PGM_RSRC2:TGID_X_EN: 1
; COMPUTE_PGM_RSRC2:TGID_Y_EN: 1
; COMPUTE_PGM_RSRC2:TGID_Z_EN: 1
; COMPUTE_PGM_RSRC2:TIDIG_COMP_CNT: 0
	.section	.text._ZL12soft_max_f32ILb1ELi1024ELi1024E6__halfEvPKfPKT2_S2_Pf15soft_max_params,"axG",@progbits,_ZL12soft_max_f32ILb1ELi1024ELi1024E6__halfEvPKfPKT2_S2_Pf15soft_max_params,comdat
	.globl	_ZL12soft_max_f32ILb1ELi1024ELi1024E6__halfEvPKfPKT2_S2_Pf15soft_max_params ; -- Begin function _ZL12soft_max_f32ILb1ELi1024ELi1024E6__halfEvPKfPKT2_S2_Pf15soft_max_params
	.p2align	8
	.type	_ZL12soft_max_f32ILb1ELi1024ELi1024E6__halfEvPKfPKT2_S2_Pf15soft_max_params,@function
_ZL12soft_max_f32ILb1ELi1024ELi1024E6__halfEvPKfPKT2_S2_Pf15soft_max_params: ; @_ZL12soft_max_f32ILb1ELi1024ELi1024E6__halfEvPKfPKT2_S2_Pf15soft_max_params
; %bb.0:
	s_clause 0x1
	s_load_b256 s[4:11], s[0:1], 0x68
	s_load_b64 s[12:13], s[0:1], 0x88
	s_bfe_u32 s2, ttmp6, 0x40010
	s_and_b32 s3, ttmp7, 0xffff
	s_add_co_i32 s2, s2, 1
	s_bfe_u32 s14, ttmp6, 0x40004
	s_mul_i32 s2, s3, s2
	s_getreg_b32 s28, hwreg(HW_REG_IB_STS2, 6, 4)
	s_add_co_i32 s14, s14, s2
	s_cmp_eq_u32 s28, 0
	s_cselect_b32 s2, s3, s14
	s_mov_b32 s3, 0
	s_wait_kmcnt 0x0
	s_and_b64 s[14:15], s[10:11], 0xffffffff00000000
	s_delay_alu instid0(SALU_CYCLE_1)
	s_cmp_lg_u64 s[14:15], 0
	s_cbranch_scc0 .LBB6_10
; %bb.1:
	s_ashr_i32 s14, s11, 31
	s_mov_b32 s21, s3
	s_mov_b32 s15, s14
	;; [unrolled: 1-line block ×3, first 2 shown]
	s_add_nc_u64 s[16:17], s[10:11], s[14:15]
	s_delay_alu instid0(SALU_CYCLE_1) | instskip(NEXT) | instid1(SALU_CYCLE_1)
	s_xor_b64 s[14:15], s[16:17], s[14:15]
	s_cvt_f32_u32 s11, s14
	s_cvt_f32_u32 s16, s15
	s_sub_nc_u64 s[18:19], 0, s[14:15]
	s_delay_alu instid0(SALU_CYCLE_2) | instskip(NEXT) | instid1(SALU_CYCLE_3)
	s_fmamk_f32 s11, s16, 0x4f800000, s11
	v_s_rcp_f32 s11, s11
	s_delay_alu instid0(TRANS32_DEP_1) | instskip(NEXT) | instid1(SALU_CYCLE_3)
	s_mul_f32 s11, s11, 0x5f7ffffc
	s_mul_f32 s16, s11, 0x2f800000
	s_delay_alu instid0(SALU_CYCLE_3) | instskip(NEXT) | instid1(SALU_CYCLE_3)
	s_trunc_f32 s16, s16
	s_fmamk_f32 s11, s16, 0xcf800000, s11
	s_cvt_u32_f32 s17, s16
	s_delay_alu instid0(SALU_CYCLE_2) | instskip(NEXT) | instid1(SALU_CYCLE_3)
	s_cvt_u32_f32 s16, s11
	s_mul_u64 s[22:23], s[18:19], s[16:17]
	s_delay_alu instid0(SALU_CYCLE_1)
	s_mul_hi_u32 s27, s16, s23
	s_mul_i32 s26, s16, s23
	s_mul_hi_u32 s20, s16, s22
	s_mul_i32 s24, s17, s22
	s_add_nc_u64 s[20:21], s[20:21], s[26:27]
	s_mul_hi_u32 s11, s17, s22
	s_mul_hi_u32 s29, s17, s23
	s_add_co_u32 s20, s20, s24
	s_add_co_ci_u32 s24, s21, s11
	s_mul_i32 s22, s17, s23
	s_add_co_ci_u32 s23, s29, 0
	s_delay_alu instid0(SALU_CYCLE_1) | instskip(SKIP_3) | instid1(SALU_CYCLE_1)
	s_add_nc_u64 s[20:21], s[24:25], s[22:23]
	s_mov_b32 s23, s3
	s_add_co_u32 s16, s16, s20
	s_cselect_b32 s11, -1, 0
	s_cmp_lg_u32 s11, 0
	s_add_co_ci_u32 s17, s17, s21
	s_mov_b32 s21, s3
	s_mul_u64 s[18:19], s[18:19], s[16:17]
	s_delay_alu instid0(SALU_CYCLE_1)
	s_mul_hi_u32 s25, s16, s19
	s_mul_i32 s24, s16, s19
	s_mul_hi_u32 s20, s16, s18
	s_mul_i32 s22, s17, s18
	s_add_nc_u64 s[20:21], s[20:21], s[24:25]
	s_mul_hi_u32 s11, s17, s18
	s_mul_hi_u32 s26, s17, s19
	s_mul_i32 s18, s17, s19
	s_add_co_u32 s19, s20, s22
	s_add_co_ci_u32 s22, s21, s11
	s_add_co_ci_u32 s19, s26, 0
	s_add_nc_u64 s[20:21], s[2:3], 0
	s_add_nc_u64 s[18:19], s[22:23], s[18:19]
	s_delay_alu instid0(SALU_CYCLE_1) | instskip(SKIP_1) | instid1(SALU_CYCLE_1)
	s_add_co_u32 s11, s16, s18
	s_cselect_b32 s16, -1, 0
	s_cmp_lg_u32 s16, 0
	s_add_co_ci_u32 s18, s17, s19
	s_xor_b64 s[16:17], s[20:21], 0
	s_mov_b32 s19, s3
	s_mul_hi_u32 s21, s16, s18
	s_mul_i32 s20, s16, s18
	s_mul_hi_u32 s22, s16, s11
	s_mul_hi_u32 s25, s17, s11
	s_mul_i32 s11, s17, s11
	s_add_nc_u64 s[20:21], s[22:23], s[20:21]
	s_mul_hi_u32 s24, s17, s18
	s_add_co_u32 s11, s20, s11
	s_mul_i32 s22, s17, s18
	s_add_co_ci_u32 s18, s21, s25
	s_add_co_ci_u32 s23, s24, 0
	s_delay_alu instid0(SALU_CYCLE_1) | instskip(NEXT) | instid1(SALU_CYCLE_1)
	s_add_nc_u64 s[18:19], s[18:19], s[22:23]
	s_and_b64 s[20:21], s[18:19], 0xffffffff00000000
	s_delay_alu instid0(SALU_CYCLE_1) | instskip(NEXT) | instid1(SALU_CYCLE_1)
	s_or_b32 s20, s20, s18
	s_mul_u64 s[18:19], s[14:15], s[20:21]
	s_delay_alu instid0(SALU_CYCLE_1)
	s_sub_co_u32 s11, s16, s18
	s_cselect_b32 s16, -1, 0
	s_sub_co_i32 s18, s17, s19
	s_cmp_lg_u32 s16, 0
	s_sub_co_ci_u32 s18, s18, s15
	s_sub_co_u32 s20, s11, s14
	s_cselect_b32 s21, -1, 0
	s_delay_alu instid0(SALU_CYCLE_1) | instskip(SKIP_1) | instid1(SALU_CYCLE_1)
	s_cmp_lg_u32 s21, 0
	s_sub_co_ci_u32 s22, s18, 0
	s_cmp_ge_u32 s22, s15
	s_cselect_b32 s23, -1, 0
	s_cmp_ge_u32 s20, s14
	s_cselect_b32 s24, -1, 0
	s_cmp_eq_u32 s22, s15
	s_cselect_b32 s23, s24, s23
	s_cmp_lg_u32 s21, 0
	s_sub_co_ci_u32 s18, s18, s15
	s_sub_co_u32 s21, s20, s14
	s_cselect_b32 s24, -1, 0
	s_delay_alu instid0(SALU_CYCLE_1)
	s_cmp_lg_u32 s24, 0
	s_sub_co_ci_u32 s18, s18, 0
	s_cmp_lg_u32 s23, 0
	s_cselect_b32 s20, s21, s20
	s_cselect_b32 s18, s18, s22
	s_cmp_lg_u32 s16, 0
	s_sub_co_ci_u32 s16, s17, s19
	s_delay_alu instid0(SALU_CYCLE_1)
	s_cmp_ge_u32 s16, s15
	s_cselect_b32 s17, -1, 0
	s_cmp_ge_u32 s11, s14
	s_cselect_b32 s14, -1, 0
	s_cmp_eq_u32 s16, s15
	s_cselect_b32 s14, s14, s17
	s_delay_alu instid0(SALU_CYCLE_1) | instskip(SKIP_2) | instid1(SALU_CYCLE_1)
	s_cmp_lg_u32 s14, 0
	s_cselect_b32 s15, s18, s16
	s_cselect_b32 s14, s20, s11
	s_xor_b64 s[14:15], s[14:15], 0
	s_delay_alu instid0(SALU_CYCLE_1)
	s_sub_nc_u64 s[20:21], s[14:15], 0
	s_and_not1_b32 vcc_lo, exec_lo, s3
	s_cbranch_vccnz .LBB6_3
.LBB6_2:
	v_cvt_f32_u32_e32 v1, s10
	s_sub_co_i32 s11, 0, s10
	s_mov_b32 s21, 0
	s_delay_alu instid0(VALU_DEP_1) | instskip(SKIP_1) | instid1(TRANS32_DEP_1)
	v_rcp_iflag_f32_e32 v1, v1
	v_nop
	v_mul_f32_e32 v1, 0x4f7ffffe, v1
	s_delay_alu instid0(VALU_DEP_1) | instskip(NEXT) | instid1(VALU_DEP_1)
	v_cvt_u32_f32_e32 v1, v1
	v_readfirstlane_b32 s3, v1
	s_mul_i32 s11, s11, s3
	s_delay_alu instid0(SALU_CYCLE_1) | instskip(NEXT) | instid1(SALU_CYCLE_1)
	s_mul_hi_u32 s11, s3, s11
	s_add_co_i32 s3, s3, s11
	s_delay_alu instid0(SALU_CYCLE_1) | instskip(NEXT) | instid1(SALU_CYCLE_1)
	s_mul_hi_u32 s3, s2, s3
	s_mul_i32 s3, s3, s10
	s_delay_alu instid0(SALU_CYCLE_1) | instskip(NEXT) | instid1(SALU_CYCLE_1)
	s_sub_co_i32 s3, s2, s3
	s_sub_co_i32 s11, s3, s10
	s_cmp_ge_u32 s3, s10
	s_cselect_b32 s3, s11, s3
	s_delay_alu instid0(SALU_CYCLE_1)
	s_sub_co_i32 s11, s3, s10
	s_cmp_ge_u32 s3, s10
	s_cselect_b32 s20, s11, s3
.LBB6_3:
	s_load_b64 s[10:11], s[0:1], 0x90
	s_bfe_u32 s3, ttmp6, 0x40014
	s_lshr_b32 s14, ttmp7, 16
	s_add_co_i32 s3, s3, 1
	s_bfe_u32 s15, ttmp6, 0x40008
	s_mul_i32 s3, s14, s3
	s_mov_b32 s23, 0
	s_add_co_i32 s15, s15, s3
	s_cmp_eq_u32 s28, 0
	s_cselect_b32 s22, s14, s15
	s_and_b64 s[14:15], s[12:13], 0xffffffff00000000
	s_delay_alu instid0(SALU_CYCLE_1)
	s_cmp_lg_u64 s[14:15], 0
	s_cbranch_scc0 .LBB6_11
; %bb.4:
	s_ashr_i32 s14, s13, 31
	s_mov_b32 s25, s23
	s_mov_b32 s15, s14
	;; [unrolled: 1-line block ×3, first 2 shown]
	s_add_nc_u64 s[16:17], s[12:13], s[14:15]
	s_delay_alu instid0(SALU_CYCLE_1) | instskip(NEXT) | instid1(SALU_CYCLE_1)
	s_xor_b64 s[14:15], s[16:17], s[14:15]
	s_cvt_f32_u32 s3, s14
	s_cvt_f32_u32 s13, s15
	s_sub_nc_u64 s[18:19], 0, s[14:15]
	s_delay_alu instid0(SALU_CYCLE_2) | instskip(NEXT) | instid1(SALU_CYCLE_3)
	s_fmamk_f32 s3, s13, 0x4f800000, s3
	v_s_rcp_f32 s3, s3
	s_delay_alu instid0(TRANS32_DEP_1) | instskip(NEXT) | instid1(SALU_CYCLE_3)
	s_mul_f32 s3, s3, 0x5f7ffffc
	s_mul_f32 s13, s3, 0x2f800000
	s_delay_alu instid0(SALU_CYCLE_3) | instskip(NEXT) | instid1(SALU_CYCLE_3)
	s_trunc_f32 s13, s13
	s_fmamk_f32 s3, s13, 0xcf800000, s3
	s_cvt_u32_f32 s17, s13
	s_delay_alu instid0(SALU_CYCLE_2) | instskip(NEXT) | instid1(SALU_CYCLE_3)
	s_cvt_u32_f32 s16, s3
	s_mul_u64 s[26:27], s[18:19], s[16:17]
	s_delay_alu instid0(SALU_CYCLE_1)
	s_mul_hi_u32 s35, s16, s27
	s_mul_i32 s34, s16, s27
	s_mul_hi_u32 s24, s16, s26
	s_mul_i32 s13, s17, s26
	s_add_nc_u64 s[24:25], s[24:25], s[34:35]
	s_mul_hi_u32 s3, s17, s26
	s_mul_hi_u32 s29, s17, s27
	s_add_co_u32 s13, s24, s13
	s_add_co_ci_u32 s30, s25, s3
	s_mul_i32 s26, s17, s27
	s_add_co_ci_u32 s27, s29, 0
	s_delay_alu instid0(SALU_CYCLE_1) | instskip(SKIP_3) | instid1(SALU_CYCLE_1)
	s_add_nc_u64 s[24:25], s[30:31], s[26:27]
	s_mov_b32 s27, s23
	s_add_co_u32 s16, s16, s24
	s_cselect_b32 s3, -1, 0
	s_cmp_lg_u32 s3, 0
	s_add_co_ci_u32 s17, s17, s25
	s_mov_b32 s25, s23
	s_mul_u64 s[18:19], s[18:19], s[16:17]
	s_delay_alu instid0(SALU_CYCLE_1)
	s_mul_hi_u32 s31, s16, s19
	s_mul_i32 s30, s16, s19
	s_mul_hi_u32 s24, s16, s18
	s_mul_i32 s13, s17, s18
	s_add_nc_u64 s[24:25], s[24:25], s[30:31]
	s_mul_hi_u32 s3, s17, s18
	s_mul_hi_u32 s29, s17, s19
	s_add_co_u32 s13, s24, s13
	s_add_co_ci_u32 s26, s25, s3
	s_mul_i32 s18, s17, s19
	s_add_co_ci_u32 s19, s29, 0
	s_add_nc_u64 s[24:25], s[22:23], 0
	s_add_nc_u64 s[18:19], s[26:27], s[18:19]
	s_delay_alu instid0(SALU_CYCLE_1) | instskip(SKIP_1) | instid1(SALU_CYCLE_1)
	s_add_co_u32 s3, s16, s18
	s_cselect_b32 s13, -1, 0
	s_cmp_lg_u32 s13, 0
	s_add_co_ci_u32 s13, s17, s19
	s_xor_b64 s[16:17], s[24:25], 0
	s_mov_b32 s19, s23
	s_mul_hi_u32 s25, s16, s13
	s_mul_i32 s24, s16, s13
	s_mul_hi_u32 s26, s16, s3
	s_mul_hi_u32 s18, s17, s3
	s_mul_i32 s3, s17, s3
	s_add_nc_u64 s[24:25], s[26:27], s[24:25]
	s_mul_hi_u32 s29, s17, s13
	s_add_co_u32 s3, s24, s3
	s_add_co_ci_u32 s18, s25, s18
	s_mul_i32 s26, s17, s13
	s_add_co_ci_u32 s27, s29, 0
	s_delay_alu instid0(SALU_CYCLE_1) | instskip(NEXT) | instid1(SALU_CYCLE_1)
	s_add_nc_u64 s[18:19], s[18:19], s[26:27]
	s_and_b64 s[24:25], s[18:19], 0xffffffff00000000
	s_delay_alu instid0(SALU_CYCLE_1) | instskip(NEXT) | instid1(SALU_CYCLE_1)
	s_or_b32 s24, s24, s18
	s_mul_u64 s[18:19], s[14:15], s[24:25]
	s_delay_alu instid0(SALU_CYCLE_1)
	s_sub_co_u32 s3, s16, s18
	s_cselect_b32 s13, -1, 0
	s_sub_co_i32 s16, s17, s19
	s_cmp_lg_u32 s13, 0
	s_sub_co_ci_u32 s16, s16, s15
	s_sub_co_u32 s18, s3, s14
	s_cselect_b32 s24, -1, 0
	s_delay_alu instid0(SALU_CYCLE_1) | instskip(SKIP_1) | instid1(SALU_CYCLE_1)
	s_cmp_lg_u32 s24, 0
	s_sub_co_ci_u32 s25, s16, 0
	s_cmp_ge_u32 s25, s15
	s_cselect_b32 s26, -1, 0
	s_cmp_ge_u32 s18, s14
	s_cselect_b32 s27, -1, 0
	s_cmp_eq_u32 s25, s15
	s_cselect_b32 s26, s27, s26
	s_cmp_lg_u32 s24, 0
	s_sub_co_ci_u32 s16, s16, s15
	s_sub_co_u32 s24, s18, s14
	s_cselect_b32 s27, -1, 0
	s_delay_alu instid0(SALU_CYCLE_1)
	s_cmp_lg_u32 s27, 0
	s_sub_co_ci_u32 s16, s16, 0
	s_cmp_lg_u32 s26, 0
	s_cselect_b32 s18, s24, s18
	s_cselect_b32 s16, s16, s25
	s_cmp_lg_u32 s13, 0
	s_sub_co_ci_u32 s13, s17, s19
	s_delay_alu instid0(SALU_CYCLE_1)
	s_cmp_ge_u32 s13, s15
	s_cselect_b32 s17, -1, 0
	s_cmp_ge_u32 s3, s14
	s_cselect_b32 s14, -1, 0
	s_cmp_eq_u32 s13, s15
	s_cselect_b32 s14, s14, s17
	s_delay_alu instid0(SALU_CYCLE_1) | instskip(SKIP_2) | instid1(SALU_CYCLE_1)
	s_cmp_lg_u32 s14, 0
	s_cselect_b32 s15, s16, s13
	s_cselect_b32 s14, s18, s3
	s_xor_b64 s[14:15], s[14:15], 0
	s_delay_alu instid0(SALU_CYCLE_1)
	s_sub_nc_u64 s[24:25], s[14:15], 0
	s_and_not1_b32 vcc_lo, exec_lo, s23
	s_cbranch_vccnz .LBB6_6
.LBB6_5:
	v_cvt_f32_u32_e32 v1, s12
	s_sub_co_i32 s13, 0, s12
	s_mov_b32 s25, 0
	s_delay_alu instid0(VALU_DEP_1) | instskip(SKIP_1) | instid1(TRANS32_DEP_1)
	v_rcp_iflag_f32_e32 v1, v1
	v_nop
	v_mul_f32_e32 v1, 0x4f7ffffe, v1
	s_delay_alu instid0(VALU_DEP_1) | instskip(NEXT) | instid1(VALU_DEP_1)
	v_cvt_u32_f32_e32 v1, v1
	v_readfirstlane_b32 s3, v1
	s_mul_i32 s13, s13, s3
	s_delay_alu instid0(SALU_CYCLE_1) | instskip(NEXT) | instid1(SALU_CYCLE_1)
	s_mul_hi_u32 s13, s3, s13
	s_add_co_i32 s3, s3, s13
	s_delay_alu instid0(SALU_CYCLE_1) | instskip(NEXT) | instid1(SALU_CYCLE_1)
	s_mul_hi_u32 s3, s22, s3
	s_mul_i32 s3, s3, s12
	s_delay_alu instid0(SALU_CYCLE_1) | instskip(NEXT) | instid1(SALU_CYCLE_1)
	s_sub_co_i32 s3, s22, s3
	s_sub_co_i32 s13, s3, s12
	s_cmp_ge_u32 s3, s12
	s_cselect_b32 s3, s13, s3
	s_delay_alu instid0(SALU_CYCLE_1)
	s_sub_co_i32 s13, s3, s12
	s_cmp_ge_u32 s3, s12
	s_cselect_b32 s24, s13, s3
.LBB6_6:
	s_load_b64 s[26:27], s[0:1], 0xa0
	v_mov_b32_e32 v1, 1.0
	s_wait_kmcnt 0x0
	s_cmp_le_f32 s11, 0
	s_cbranch_scc1 .LBB6_8
; %bb.7:
	s_clause 0x1
	s_load_b32 s3, s[0:1], 0x28
	s_load_b64 s[12:13], s[0:1], 0x98
	s_add_co_i32 s14, s2, 1
	s_wait_kmcnt 0x0
	s_sub_co_i32 s11, s2, s3
	s_delay_alu instid0(SALU_CYCLE_1) | instskip(NEXT) | instid1(SALU_CYCLE_1)
	s_lshl_b32 s11, s11, 1
	s_or_b32 s11, s11, 1
	s_cmp_lt_u32 s2, s3
	s_cselect_b32 s3, s14, s11
	s_cselect_b32 s12, s12, s13
	s_cvt_f32_i32 s3, s3
	s_cmp_neq_f32 s12, 1.0
	s_delay_alu instid0(SALU_CYCLE_2) | instskip(NEXT) | instid1(SALU_CYCLE_1)
	s_cselect_b32 s11, s3, 1.0
	s_cmp_neq_f32 s11, 0
	s_cselect_b32 s3, s12, 1.0
	s_delay_alu instid0(SALU_CYCLE_1) | instskip(NEXT) | instid1(VALU_DEP_1)
	v_cvt_f64_f32_e64 v[2:3], |s3|
	v_frexp_exp_i32_f64_e32 v1, v[2:3]
	v_frexp_mant_f32_e64 v2, |s3|
	s_delay_alu instid0(VALU_DEP_1) | instskip(SKIP_2) | instid1(SALU_CYCLE_1)
	v_readfirstlane_b32 s12, v2
	s_cmp_lt_f32 s12, 0x3f2aaaab
	s_cselect_b32 vcc_lo, -1, 0
	s_and_b32 s13, vcc_lo, exec_lo
	s_cselect_b32 s13, 2.0, 1.0
	s_delay_alu instid0(SALU_CYCLE_1) | instskip(NEXT) | instid1(SALU_CYCLE_3)
	s_mul_f32 s12, s12, s13
	s_add_f32 s13, s12, 1.0
	s_add_f32 s15, s12, -1.0
	s_delay_alu instid0(SALU_CYCLE_2) | instskip(SKIP_2) | instid1(SALU_CYCLE_2)
	v_s_rcp_f32 s14, s13
	s_add_f32 s18, s13, -1.0
	v_subrev_co_ci_u32_e64 v1, null, 0, v1, vcc_lo
	s_sub_f32 s12, s12, s18
	s_delay_alu instid0(TRANS32_DEP_1) | instskip(SKIP_1) | instid1(SALU_CYCLE_2)
	s_mul_f32 s16, s15, s14
	v_cvt_f32_i32_e32 v1, v1
	s_mul_f32 s17, s13, s16
	s_delay_alu instid0(SALU_CYCLE_3) | instskip(SKIP_1) | instid1(SALU_CYCLE_1)
	v_dual_mov_b32 v3, s15 :: v_dual_mov_b32 v4, s17
	s_xor_b32 s19, s17, 0x80000000
	s_fmac_f32 s19, s16, s13
	s_delay_alu instid0(SALU_CYCLE_3) | instskip(NEXT) | instid1(SALU_CYCLE_3)
	s_fmac_f32 s19, s16, s12
	s_add_f32 s12, s17, s19
	v_mov_b32_e32 v6, s19
	s_mov_b32 s17, 0x3e76c4e1
	s_delay_alu instid0(SALU_CYCLE_1) | instskip(SKIP_1) | instid1(SALU_CYCLE_2)
	s_sub_f32 s13, s15, s12
	v_dual_mov_b32 v2, s12 :: v_dual_mov_b32 v7, s12
	v_mov_b32_e32 v5, s13
	s_delay_alu instid0(VALU_DEP_1) | instskip(NEXT) | instid1(VALU_DEP_1)
	v_pk_add_f32 v[2:3], v[2:3], v[4:5] neg_lo:[0,1] neg_hi:[0,1]
	v_pk_add_f32 v[2:3], v[2:3], v[6:7] neg_lo:[0,1] neg_hi:[0,1]
	s_delay_alu instid0(VALU_DEP_1) | instskip(NEXT) | instid1(VALU_DEP_2)
	v_readfirstlane_b32 s12, v3
	v_readfirstlane_b32 s15, v2
	s_add_f32 s12, s15, s12
	s_delay_alu instid0(SALU_CYCLE_3) | instskip(NEXT) | instid1(SALU_CYCLE_3)
	s_add_f32 s12, s13, s12
	s_mul_f32 s13, s14, s12
	s_delay_alu instid0(SALU_CYCLE_3) | instskip(NEXT) | instid1(SALU_CYCLE_3)
	s_add_f32 s12, s16, s13
	s_sub_f32 s14, s12, s16
	s_mul_f32 s15, s12, s12
	s_delay_alu instid0(SALU_CYCLE_2) | instskip(NEXT) | instid1(SALU_CYCLE_2)
	s_sub_f32 s16, s13, s14
	s_xor_b32 s13, s15, 0x80000000
	s_delay_alu instid0(SALU_CYCLE_1) | instskip(NEXT) | instid1(SALU_CYCLE_1)
	s_fmac_f32 s13, s12, s12
	s_add_f32 s14, s16, s16
	s_delay_alu instid0(SALU_CYCLE_3) | instskip(NEXT) | instid1(SALU_CYCLE_3)
	s_fmac_f32 s13, s12, s14
	s_add_f32 s14, s15, s13
	s_delay_alu instid0(SALU_CYCLE_3) | instskip(SKIP_1) | instid1(SALU_CYCLE_2)
	s_fmaak_f32 s17, s14, s17, 0x3e91f4c4
	s_sub_f32 s15, s14, s15
	s_fmaak_f32 s17, s14, s17, 0x3ecccdef
	s_delay_alu instid0(SALU_CYCLE_2) | instskip(NEXT) | instid1(SALU_CYCLE_2)
	s_sub_f32 s23, s13, s15
	s_mul_f32 s18, s14, s17
	s_delay_alu instid0(SALU_CYCLE_3) | instskip(NEXT) | instid1(SALU_CYCLE_1)
	s_xor_b32 s19, s18, 0x80000000
	s_fmac_f32 s19, s14, s17
	s_delay_alu instid0(SALU_CYCLE_3) | instskip(NEXT) | instid1(SALU_CYCLE_3)
	s_fmac_f32 s19, s23, s17
	s_add_f32 s15, s18, s19
	s_delay_alu instid0(SALU_CYCLE_3) | instskip(SKIP_1) | instid1(SALU_CYCLE_2)
	s_sub_f32 s13, s15, s18
	s_add_f32 s17, s15, 0x3f2aaaaa
	s_sub_f32 s13, s19, s13
	s_delay_alu instid0(SALU_CYCLE_2) | instskip(NEXT) | instid1(SALU_CYCLE_2)
	s_add_f32 s18, s17, 0xbf2aaaaa
	s_add_f32 s13, s13, 0x31739010
	s_delay_alu instid0(SALU_CYCLE_2) | instskip(NEXT) | instid1(SALU_CYCLE_2)
	s_sub_f32 s15, s15, s18
	v_mov_b64_e32 v[2:3], s[12:13]
	s_delay_alu instid0(SALU_CYCLE_2) | instskip(NEXT) | instid1(VALU_DEP_1)
	v_mov_b64_e32 v[4:5], s[14:15]
	v_pk_mul_f32 v[6:7], v[2:3], v[4:5]
	v_pk_add_f32 v[2:3], v[2:3], v[4:5]
	v_mov_b32_e32 v9, s17
	s_delay_alu instid0(VALU_DEP_3) | instskip(NEXT) | instid1(VALU_DEP_3)
	v_xor_b32_e32 v8, 0x80000000, v6
	v_mov_b32_e32 v7, v3
	s_delay_alu instid0(VALU_DEP_2) | instskip(NEXT) | instid1(VALU_DEP_1)
	v_fmac_f32_e64 v8, s14, s12
	v_fmac_f32_e64 v8, s14, s16
	s_delay_alu instid0(VALU_DEP_1) | instskip(NEXT) | instid1(VALU_DEP_1)
	v_fmac_f32_e64 v8, s23, s12
	v_pk_add_f32 v[4:5], v[6:7], v[8:9]
	s_delay_alu instid0(VALU_DEP_1) | instskip(SKIP_1) | instid1(VALU_DEP_2)
	v_dual_mov_b32 v2, v5 :: v_dual_sub_f32 v7, s17, v5
	v_mul_f32_e32 v12, 0x3f317218, v1
	v_pk_mul_f32 v[10:11], v[4:5], v[2:3]
	s_delay_alu instid0(VALU_DEP_3) | instskip(NEXT) | instid1(VALU_DEP_3)
	v_add_f32_e32 v3, v3, v7
	v_xor_b32_e32 v7, 0x80000000, v12
	s_delay_alu instid0(VALU_DEP_3) | instskip(NEXT) | instid1(VALU_DEP_2)
	v_xor_b32_e32 v2, 0x80000000, v10
	v_dual_sub_f32 v6, v4, v6 :: v_dual_fmac_f32 v7, 0x3f317218, v1
	s_delay_alu instid0(VALU_DEP_2) | instskip(NEXT) | instid1(VALU_DEP_2)
	v_fmac_f32_e32 v2, v4, v5
	v_sub_f32_e32 v6, v8, v6
	s_delay_alu instid0(VALU_DEP_2) | instskip(NEXT) | instid1(VALU_DEP_1)
	v_fmac_f32_e32 v2, v4, v3
	v_fmac_f32_e32 v2, v6, v5
	v_fmamk_f32 v4, v1, 0xb102e308, v7
	v_ldexp_f32 v5, s12, 1
	v_ldexp_f32 v1, s16, 1
	s_delay_alu instid0(VALU_DEP_2) | instskip(NEXT) | instid1(VALU_DEP_1)
	v_dual_add_f32 v13, v10, v2 :: v_dual_mov_b32 v11, v5
	v_pk_add_f32 v[6:7], v[12:13], v[4:5]
	v_dual_mov_b32 v8, v13 :: v_dual_mov_b32 v3, v13
	s_delay_alu instid0(VALU_DEP_2) | instskip(SKIP_1) | instid1(VALU_DEP_2)
	v_dual_mov_b32 v9, v7 :: v_dual_mov_b32 v5, v6
	v_mov_b32_e32 v14, v7
	v_pk_add_f32 v[8:9], v[8:9], v[10:11] neg_lo:[0,1] neg_hi:[0,1]
	s_delay_alu instid0(VALU_DEP_1) | instskip(NEXT) | instid1(VALU_DEP_1)
	v_pk_add_f32 v[2:3], v[2:3], v[8:9] neg_lo:[0,1] neg_hi:[0,1]
	v_add_f32_e32 v1, v1, v2
	s_delay_alu instid0(VALU_DEP_1) | instskip(NEXT) | instid1(VALU_DEP_1)
	v_add_f32_e32 v13, v1, v3
	v_pk_add_f32 v[2:3], v[6:7], v[12:13]
	v_pk_add_f32 v[8:9], v[6:7], v[12:13] neg_lo:[0,1] neg_hi:[0,1]
	s_delay_alu instid0(VALU_DEP_2) | instskip(NEXT) | instid1(VALU_DEP_1)
	v_mov_b32_e32 v9, v3
	v_pk_add_f32 v[10:11], v[4:5], v[8:9]
	v_pk_add_f32 v[4:5], v[4:5], v[8:9] neg_lo:[0,1] neg_hi:[0,1]
	v_dual_mov_b32 v16, v3 :: v_dual_mov_b32 v5, v6
	s_delay_alu instid0(VALU_DEP_3) | instskip(NEXT) | instid1(VALU_DEP_3)
	v_dual_mov_b32 v12, v11 :: v_dual_mov_b32 v17, v11
	v_readfirstlane_b32 s12, v4
	s_delay_alu instid0(VALU_DEP_2) | instskip(NEXT) | instid1(VALU_DEP_2)
	v_pk_add_f32 v[8:9], v[12:13], v[6:7] neg_lo:[0,1] neg_hi:[0,1]
	v_dual_mov_b32 v4, v13 :: v_dual_mov_b32 v10, s12
	s_delay_alu instid0(VALU_DEP_2) | instskip(NEXT) | instid1(VALU_DEP_1)
	v_dual_mov_b32 v15, v8 :: v_dual_mov_b32 v1, v8
	v_pk_add_f32 v[6:7], v[16:17], v[14:15] neg_lo:[0,1] neg_hi:[0,1]
	s_delay_alu instid0(VALU_DEP_2) | instskip(SKIP_1) | instid1(VALU_DEP_3)
	v_pk_add_f32 v[2:3], v[2:3], v[0:1] neg_lo:[0,1] neg_hi:[0,1]
	v_mov_b32_e32 v2, s12
	v_pk_add_f32 v[4:5], v[4:5], v[6:7] neg_lo:[0,1] neg_hi:[0,1]
	s_delay_alu instid0(VALU_DEP_1) | instskip(NEXT) | instid1(VALU_DEP_1)
	v_pk_add_f32 v[2:3], v[2:3], v[4:5]
	v_readfirstlane_b32 s13, v2
	s_delay_alu instid0(VALU_DEP_2) | instskip(NEXT) | instid1(VALU_DEP_1)
	v_mov_b32_e32 v6, v3
	v_pk_add_f32 v[6:7], v[2:3], v[6:7]
	s_delay_alu instid0(VALU_DEP_3) | instskip(NEXT) | instid1(VALU_DEP_2)
	v_mov_b32_e32 v2, s13
	v_pk_add_f32 v[8:9], v[12:13], v[6:7]
	v_mov_b32_e32 v5, v6
	s_delay_alu instid0(VALU_DEP_2) | instskip(NEXT) | instid1(VALU_DEP_1)
	v_readfirstlane_b32 s14, v8
	v_mov_b32_e32 v3, s14
	s_delay_alu instid0(VALU_DEP_1) | instskip(NEXT) | instid1(VALU_DEP_1)
	v_pk_add_f32 v[2:3], v[2:3], v[10:11] neg_lo:[0,1] neg_hi:[0,1]
	v_readfirstlane_b32 s15, v2
	s_delay_alu instid0(VALU_DEP_2) | instskip(SKIP_1) | instid1(VALU_DEP_1)
	v_pk_add_f32 v[2:3], v[4:5], v[2:3] neg_lo:[0,1] neg_hi:[0,1]
	s_sub_f32 s13, s13, s15
	v_readfirstlane_b32 s15, v2
	s_delay_alu instid0(SALU_CYCLE_2) | instskip(SKIP_1) | instid1(SALU_CYCLE_2)
	s_sub_f32 s12, s12, s13
	v_readfirstlane_b32 s13, v3
	s_add_f32 s12, s15, s12
	s_delay_alu instid0(SALU_CYCLE_3) | instskip(NEXT) | instid1(SALU_CYCLE_3)
	s_add_f32 s12, s12, s13
	s_add_f32 s13, s14, s12
	s_delay_alu instid0(SALU_CYCLE_3) | instskip(SKIP_1) | instid1(SALU_CYCLE_2)
	s_mul_f32 s15, s11, s13
	s_sub_f32 s14, s13, s14
	s_xor_b32 s16, s15, 0x80000000
	s_delay_alu instid0(SALU_CYCLE_2) | instskip(SKIP_1) | instid1(SALU_CYCLE_3)
	s_sub_f32 s12, s12, s14
	s_fmac_f32 s16, s11, s13
	s_fmac_f32 s16, s11, s12
	v_cmp_class_f32_e64 s12, s15, 0x204
	s_delay_alu instid0(SALU_CYCLE_2) | instskip(SKIP_1) | instid1(SALU_CYCLE_2)
	s_add_f32 s13, s15, s16
	s_and_b32 s12, s12, exec_lo
	s_sub_f32 s12, s13, s15
	s_cselect_b32 s13, s15, s13
	s_delay_alu instid0(SALU_CYCLE_1) | instskip(NEXT) | instid1(SALU_CYCLE_1)
	s_and_b32 s14, s13, 0x7fffffff
	s_sub_f32 s12, s16, s12
	s_cmp_neq_f32 s14, 0x7f800000
	s_delay_alu instid0(SALU_CYCLE_2) | instskip(SKIP_2) | instid1(SALU_CYCLE_1)
	s_cselect_b32 s12, s12, 0
	s_cmp_eq_f32 s13, 0x42b17218
	s_cselect_b32 s14, 0x37000000, 0
	s_sub_f32 s13, s13, s14
	s_add_f32 s12, s14, s12
	s_delay_alu instid0(SALU_CYCLE_2) | instskip(NEXT) | instid1(SALU_CYCLE_3)
	s_mul_f32 s15, s13, 0x3fb8aa3b
	s_xor_b32 s16, s15, 0x80000000
	s_rndne_f32 s17, s15
	s_fmamk_f32 s16, s13, 0x3fb8aa3b, s16
	s_cmp_nlt_f32 s13, 0xc2ce8ed0
	s_delay_alu instid0(SALU_CYCLE_1) | instskip(NEXT) | instid1(SALU_CYCLE_1)
	s_sub_f32 s15, s15, s17
	s_fmamk_f32 s16, s13, 0x32a5705f, s16
	s_cselect_b32 vcc_lo, -1, 0
	s_cmp_ngt_f32 s13, 0x42b17218
	s_trunc_f32 s13, s11
	s_add_f32 s15, s15, s16
	s_cvt_i32_f32 s16, s17
	s_delay_alu instid0(SALU_CYCLE_2)
	v_s_exp_f32 s15, s15
	v_nop
	s_delay_alu instid0(TRANS32_DEP_1) | instid1(SALU_CYCLE_1)
	v_ldexp_f32 v1, s15, s16
	s_mul_f32 s15, s11, 0.5
	s_delay_alu instid0(VALU_DEP_1) | instskip(SKIP_3) | instid1(VALU_DEP_1)
	v_cndmask_b32_e32 v1, 0, v1, vcc_lo
	s_cselect_b32 vcc_lo, -1, 0
	s_cmp_eq_f32 s13, s11
	s_trunc_f32 s16, s15
	v_cndmask_b32_e32 v1, 0x7f800000, v1, vcc_lo
	s_cselect_b32 s17, -1, 0
	s_delay_alu instid0(SALU_CYCLE_1) | instskip(NEXT) | instid1(VALU_DEP_1)
	s_cmp_neq_f32 s16, s15
	v_fma_f32 v2, s12, v1, v1
	v_cmp_class_f32_e64 vcc_lo, v1, 0x204
	s_cselect_b32 s14, -1, 0
	s_delay_alu instid0(SALU_CYCLE_1)
	s_and_b32 s12, s17, s14
	v_cndmask_b32_e32 v1, v2, v1, vcc_lo
	s_and_b32 s14, s12, exec_lo
	s_cselect_b32 s14, s3, 1.0
	s_cmp_eq_f32 s13, s11
	v_cmp_class_f32_e64 s13, s3, 0x204
	v_bfi_b32 v1, 0x7fffffff, v1, s14
	s_cselect_b32 vcc_lo, -1, 0
	s_cmp_lt_f32 s3, 0
	s_delay_alu instid0(VALU_DEP_1) | instskip(SKIP_2) | instid1(VALU_DEP_1)
	v_cndmask_b32_e32 v2, 0x7fc00000, v1, vcc_lo
	s_cselect_b32 vcc_lo, -1, 0
	s_cmp_eq_f32 s3, 0
	v_cndmask_b32_e32 v1, v1, v2, vcc_lo
	s_cselect_b32 s14, -1, 0
	s_delay_alu instid0(SALU_CYCLE_1) | instskip(SKIP_2) | instid1(SALU_CYCLE_1)
	s_or_b32 vcc_lo, s14, s13
	s_cmp_lt_f32 s11, 0
	s_cselect_b32 s11, -1, 0
	s_xor_b32 s11, s11, s14
	s_delay_alu instid0(SALU_CYCLE_1)
	s_and_b32 s11, s11, exec_lo
	s_cselect_b32 s11, 0, 0x7f800000
	s_and_b32 s12, s12, exec_lo
	s_cselect_b32 s12, s3, 0
	s_cmp_o_f32 s3, s3
	v_mov_b32_e32 v2, s12
	s_delay_alu instid0(VALU_DEP_1) | instskip(NEXT) | instid1(VALU_DEP_1)
	v_bfi_b32 v2, 0x7fffffff, s11, v2
	v_cndmask_b32_e32 v1, v1, v2, vcc_lo
	s_cselect_b32 vcc_lo, -1, 0
	s_delay_alu instid0(VALU_DEP_1)
	v_cndmask_b32_e32 v1, 0x7fc00000, v1, vcc_lo
.LBB6_8:
	s_load_b256 s[12:19], s[0:1], 0x0
	s_wait_kmcnt 0x0
	s_cmp_lg_u64 s[16:17], 0
	s_cselect_b32 s3, -1, 0
	s_cmp_eq_u64 s[16:17], 0
	s_cbranch_scc1 .LBB6_12
; %bb.9:
	s_load_b32 s11, s[16:17], s2 offset:0x0 scale_offset
	s_branch .LBB6_13
.LBB6_10:
                                        ; implicit-def: $sgpr20_sgpr21
	s_branch .LBB6_2
.LBB6_11:
                                        ; implicit-def: $sgpr24_sgpr25
	s_branch .LBB6_5
.LBB6_12:
	s_mov_b32 s11, 0xff800000
.LBB6_13:
	s_bfe_u32 s0, ttmp6, 0x4000c
	s_and_b32 s1, ttmp6, 15
	s_add_co_i32 s0, s0, 1
	s_mul_i32 s22, s27, s22
	s_mul_i32 s0, ttmp9, s0
	v_mov_b32_e32 v8, 0
	s_add_co_i32 s1, s1, s0
	s_cmp_eq_u32 s28, 0
	s_cselect_b32 s0, ttmp9, s1
	s_add_co_i32 s1, s22, s2
	s_delay_alu instid0(SALU_CYCLE_1) | instskip(NEXT) | instid1(SALU_CYCLE_1)
	s_mul_i32 s1, s1, s26
	s_add_co_i32 s22, s1, s0
	s_mov_b32 s1, 0
	s_ashr_i32 s23, s22, 31
	s_delay_alu instid0(SALU_CYCLE_1)
	s_lshl_b64 s[26:27], s[22:23], 12
	s_cmp_eq_u64 s[14:15], 0
	s_add_nc_u64 s[12:13], s[12:13], s[26:27]
	global_load_b32 v2, v0, s[12:13] scale_offset
	s_wait_xcnt 0x0
	s_cselect_b32 s12, -1, 0
	s_cmp_lg_u64 s[14:15], 0
	s_cbranch_scc0 .LBB6_15
; %bb.14:
	s_mul_u64 s[0:1], s[4:5], s[0:1]
	s_mul_u64 s[4:5], s[20:21], s[6:7]
	;; [unrolled: 1-line block ×3, first 2 shown]
	s_add_nc_u64 s[0:1], s[4:5], s[0:1]
	s_delay_alu instid0(SALU_CYCLE_1) | instskip(NEXT) | instid1(SALU_CYCLE_1)
	s_add_nc_u64 s[0:1], s[0:1], s[6:7]
	s_lshr_b64 s[0:1], s[0:1], 1
	s_and_b32 s4, s12, exec_lo
	s_cselect_b32 s1, 0, s1
	s_cselect_b32 s0, 0, s0
	s_delay_alu instid0(SALU_CYCLE_1) | instskip(NEXT) | instid1(SALU_CYCLE_1)
	s_lshl_b64 s[0:1], s[0:1], 1
	s_add_nc_u64 s[0:1], s[14:15], s[0:1]
	global_load_u16 v3, v0, s[0:1] scale_offset
	s_wait_loadcnt 0x0
	v_cvt_f32_f16_e32 v3, v3
	s_delay_alu instid0(VALU_DEP_1)
	v_mul_f32_e32 v8, v1, v3
.LBB6_15:
	v_mbcnt_lo_u32_b32 v1, -1, 0
	s_wait_loadcnt 0x0
	s_delay_alu instid0(VALU_DEP_2) | instskip(SKIP_3) | instid1(VALU_DEP_2)
	v_fmac_f32_e32 v8, s10, v2
	s_wait_kmcnt 0x0
	v_max_num_f32_e64 v2, s11, s11
	v_xor_b32_e32 v3, 16, v1
	v_dual_max_num_f32 v4, v2, v8 :: v_dual_bitop2_b32 v5, 8, v1 bitop3:0x14
	s_delay_alu instid0(VALU_DEP_2) | instskip(SKIP_1) | instid1(VALU_DEP_3)
	v_cmp_gt_i32_e32 vcc_lo, 32, v3
	v_cndmask_b32_e32 v3, v1, v3, vcc_lo
	v_cmp_gt_i32_e32 vcc_lo, 32, v5
	s_delay_alu instid0(VALU_DEP_2) | instskip(SKIP_3) | instid1(VALU_DEP_1)
	v_lshlrev_b32_e32 v2, 2, v3
	ds_bpermute_b32 v3, v2, v4
	s_wait_dscnt 0x0
	v_dual_cndmask_b32 v5, v1, v5 :: v_dual_max_num_f32 v6, v3, v3
	v_dual_lshlrev_b32 v3, 2, v5 :: v_dual_max_num_f32 v5, v4, v6
	ds_bpermute_b32 v4, v3, v5
	s_wait_dscnt 0x0
	v_dual_max_num_f32 v7, v4, v4 :: v_dual_bitop2_b32 v6, 4, v1 bitop3:0x14
	s_delay_alu instid0(VALU_DEP_1) | instskip(SKIP_1) | instid1(VALU_DEP_1)
	v_cmp_gt_i32_e32 vcc_lo, 32, v6
	v_cndmask_b32_e32 v6, v1, v6, vcc_lo
	v_dual_lshlrev_b32 v4, 2, v6 :: v_dual_max_num_f32 v6, v5, v7
	v_xor_b32_e32 v7, 2, v1
	ds_bpermute_b32 v5, v4, v6
	v_cmp_gt_i32_e32 vcc_lo, 32, v7
	s_wait_dscnt 0x0
	v_max_num_f32_e32 v9, v5, v5
	s_delay_alu instid0(VALU_DEP_1) | instskip(NEXT) | instid1(VALU_DEP_1)
	v_dual_cndmask_b32 v7, v1, v7 :: v_dual_max_num_f32 v6, v6, v9
	v_lshlrev_b32_e32 v5, 2, v7
	ds_bpermute_b32 v7, v5, v6
	s_wait_dscnt 0x0
	v_dual_max_num_f32 v7, v7, v7 :: v_dual_bitop2_b32 v9, 1, v1 bitop3:0x14
	s_delay_alu instid0(VALU_DEP_1) | instskip(NEXT) | instid1(VALU_DEP_2)
	v_cmp_gt_i32_e32 vcc_lo, 32, v9
	v_dual_max_num_f32 v10, v6, v7 :: v_dual_cndmask_b32 v1, v1, v9
	v_dual_lshrrev_b32 v7, 3, v0 :: v_dual_bitop2_b32 v9, 31, v0 bitop3:0x40
	s_delay_alu instid0(VALU_DEP_2) | instskip(SKIP_1) | instid1(VALU_DEP_3)
	v_lshlrev_b32_e32 v6, 2, v1
	v_lshl_add_u32 v1, v0, 2, 0
	v_cmp_eq_u32_e32 vcc_lo, 0, v9
	ds_bpermute_b32 v11, v6, v10
	ds_store_b32 v1, v8 offset:128
	s_and_saveexec_b32 s0, vcc_lo
	s_delay_alu instid0(SALU_CYCLE_1)
	s_xor_b32 s0, exec_lo, s0
	s_cbranch_execz .LBB6_17
; %bb.16:
	s_wait_dscnt 0x1
	v_dual_max_num_f32 v8, v11, v11 :: v_dual_max_num_f32 v10, v10, v10
	s_delay_alu instid0(VALU_DEP_1)
	v_dual_max_num_f32 v8, v10, v8 :: v_dual_add_nc_u32 v10, 0, v7
	ds_store_b32 v10, v8
.LBB6_17:
	s_or_b32 exec_lo, exec_lo, s0
	v_lshl_add_u32 v8, v9, 2, 0
	s_wait_dscnt 0x0
	s_barrier_signal -1
	s_barrier_wait -1
	ds_load_b32 v9, v8
	ds_load_b32 v10, v1 offset:128
	s_wait_dscnt 0x1
	ds_bpermute_b32 v11, v2, v9
	s_wait_dscnt 0x0
	v_dual_max_num_f32 v9, v9, v9 :: v_dual_max_num_f32 v11, v11, v11
	s_delay_alu instid0(VALU_DEP_1) | instskip(SKIP_3) | instid1(VALU_DEP_1)
	v_max_num_f32_e32 v9, v9, v11
	ds_bpermute_b32 v11, v3, v9
	s_wait_dscnt 0x0
	v_max_num_f32_e32 v11, v11, v11
	v_max_num_f32_e32 v9, v9, v11
	ds_bpermute_b32 v11, v4, v9
	s_wait_dscnt 0x0
	v_max_num_f32_e32 v11, v11, v11
	s_delay_alu instid0(VALU_DEP_1) | instskip(SKIP_3) | instid1(VALU_DEP_1)
	v_max_num_f32_e32 v9, v9, v11
	ds_bpermute_b32 v11, v5, v9
	s_wait_dscnt 0x0
	v_max_num_f32_e32 v11, v11, v11
	v_max_num_f32_e32 v9, v9, v11
	ds_bpermute_b32 v11, v6, v9
	s_wait_dscnt 0x0
	v_max_num_f32_e32 v11, v11, v11
	s_delay_alu instid0(VALU_DEP_1) | instskip(NEXT) | instid1(VALU_DEP_1)
	v_max_num_f32_e32 v9, v9, v11
	v_sub_f32_e32 v10, v10, v9
	s_delay_alu instid0(VALU_DEP_1) | instskip(NEXT) | instid1(VALU_DEP_1)
	v_mul_f32_e32 v11, 0x3fb8aa3b, v10
	v_fma_f32 v12, 0x3fb8aa3b, v10, -v11
	v_rndne_f32_e32 v13, v11
	s_delay_alu instid0(VALU_DEP_1) | instskip(NEXT) | instid1(VALU_DEP_1)
	v_dual_fmamk_f32 v12, v10, 0x32a5705f, v12 :: v_dual_sub_f32 v11, v11, v13
	v_add_f32_e32 v11, v11, v12
	v_cvt_i32_f32_e32 v12, v13
	v_cmp_ngt_f32_e64 s0, 0xc2ce8ed0, v10
	s_delay_alu instid0(VALU_DEP_3) | instskip(SKIP_1) | instid1(TRANS32_DEP_1)
	v_exp_f32_e32 v11, v11
	v_nop
	v_ldexp_f32 v11, v11, v12
	s_delay_alu instid0(VALU_DEP_1) | instskip(SKIP_1) | instid1(VALU_DEP_1)
	v_cndmask_b32_e64 v11, 0, v11, s0
	v_cmp_nlt_f32_e64 s0, 0x42b17218, v10
	v_cndmask_b32_e64 v12, 0x7f800000, v11, s0
	ds_bpermute_b32 v10, v2, v12
	ds_store_b32 v1, v12 offset:128
	s_wait_dscnt 0x1
	v_add_f32_e32 v10, v12, v10
	ds_bpermute_b32 v11, v3, v10
	s_wait_dscnt 0x0
	v_add_f32_e32 v10, v10, v11
	ds_bpermute_b32 v11, v4, v10
	s_wait_dscnt 0x0
	v_add_f32_e32 v10, v10, v11
	ds_bpermute_b32 v11, v5, v10
	s_wait_dscnt 0x0
	v_add_f32_e32 v10, v10, v11
	ds_bpermute_b32 v11, v6, v10
	s_and_saveexec_b32 s0, vcc_lo
	s_cbranch_execz .LBB6_19
; %bb.18:
	s_wait_dscnt 0x0
	v_add_f32_e32 v10, v10, v11
	v_add_nc_u32_e32 v7, 0, v7
	ds_store_b32 v7, v10
.LBB6_19:
	s_or_b32 exec_lo, exec_lo, s0
	s_wait_dscnt 0x0
	s_barrier_signal -1
	s_barrier_wait -1
	ds_load_b32 v7, v8
	s_and_not1_b32 vcc_lo, exec_lo, s3
	s_lshl_b64 s[0:1], s[22:23], 10
	s_wait_dscnt 0x0
	ds_bpermute_b32 v2, v2, v7
	s_wait_dscnt 0x0
	v_add_f32_e32 v2, v7, v2
	ds_bpermute_b32 v3, v3, v2
	s_wait_dscnt 0x0
	v_add_f32_e32 v2, v2, v3
	;; [unrolled: 3-line block ×5, first 2 shown]
	s_cbranch_vccnz .LBB6_21
; %bb.20:
	s_load_b32 s2, s[16:17], s2 offset:0x0 scale_offset
	s_wait_kmcnt 0x0
	v_sub_f32_e32 v3, s2, v9
	s_delay_alu instid0(VALU_DEP_1) | instskip(NEXT) | instid1(VALU_DEP_1)
	v_mul_f32_e32 v4, 0x3fb8aa3b, v3
	v_fma_f32 v5, 0x3fb8aa3b, v3, -v4
	v_rndne_f32_e32 v6, v4
	s_delay_alu instid0(VALU_DEP_1) | instskip(SKIP_1) | instid1(VALU_DEP_4)
	v_sub_f32_e32 v4, v4, v6
	v_cmp_ngt_f32_e32 vcc_lo, 0xc2ce8ed0, v3
	v_fmamk_f32 v5, v3, 0x32a5705f, v5
	s_delay_alu instid0(VALU_DEP_1) | instskip(SKIP_1) | instid1(VALU_DEP_2)
	v_add_f32_e32 v4, v4, v5
	v_cvt_i32_f32_e32 v5, v6
	v_exp_f32_e32 v4, v4
	v_nop
	s_delay_alu instid0(TRANS32_DEP_1) | instskip(NEXT) | instid1(VALU_DEP_1)
	v_ldexp_f32 v4, v4, v5
	v_cndmask_b32_e32 v4, 0, v4, vcc_lo
	v_cmp_nlt_f32_e32 vcc_lo, 0x42b17218, v3
	s_delay_alu instid0(VALU_DEP_2) | instskip(NEXT) | instid1(VALU_DEP_1)
	v_cndmask_b32_e32 v3, 0x7f800000, v4, vcc_lo
	v_add_f32_e32 v2, v2, v3
.LBB6_21:
	s_delay_alu instid0(VALU_DEP_1) | instskip(SKIP_4) | instid1(SALU_CYCLE_1)
	v_div_scale_f32 v3, null, v2, v2, 1.0
	v_div_scale_f32 v6, vcc_lo, 1.0, v2, 1.0
	ds_load_b32 v1, v1 offset:128
	v_rcp_f32_e32 v4, v3
	s_lshl_b64 s[0:1], s[0:1], 2
	s_add_nc_u64 s[0:1], s[18:19], s[0:1]
	v_nop
	s_delay_alu instid0(TRANS32_DEP_1) | instskip(NEXT) | instid1(VALU_DEP_1)
	v_fma_f32 v5, -v3, v4, 1.0
	v_fmac_f32_e32 v4, v5, v4
	s_delay_alu instid0(VALU_DEP_1) | instskip(NEXT) | instid1(VALU_DEP_1)
	v_mul_f32_e32 v5, v6, v4
	v_fma_f32 v7, -v3, v5, v6
	s_delay_alu instid0(VALU_DEP_1) | instskip(NEXT) | instid1(VALU_DEP_1)
	v_fmac_f32_e32 v5, v7, v4
	v_fma_f32 v3, -v3, v5, v6
	s_delay_alu instid0(VALU_DEP_1) | instskip(NEXT) | instid1(VALU_DEP_1)
	v_div_fmas_f32 v3, v3, v4, v5
	v_div_fixup_f32 v2, v3, v2, 1.0
	s_wait_dscnt 0x0
	s_delay_alu instid0(VALU_DEP_1)
	v_mul_f32_e32 v1, v2, v1
	global_store_b32 v0, v1, s[0:1] scale_offset
	s_endpgm
	.section	.rodata,"a",@progbits
	.p2align	6, 0x0
	.amdhsa_kernel _ZL12soft_max_f32ILb1ELi1024ELi1024E6__halfEvPKfPKT2_S2_Pf15soft_max_params
		.amdhsa_group_segment_fixed_size 0
		.amdhsa_private_segment_fixed_size 0
		.amdhsa_kernarg_size 416
		.amdhsa_user_sgpr_count 2
		.amdhsa_user_sgpr_dispatch_ptr 0
		.amdhsa_user_sgpr_queue_ptr 0
		.amdhsa_user_sgpr_kernarg_segment_ptr 1
		.amdhsa_user_sgpr_dispatch_id 0
		.amdhsa_user_sgpr_kernarg_preload_length 0
		.amdhsa_user_sgpr_kernarg_preload_offset 0
		.amdhsa_user_sgpr_private_segment_size 0
		.amdhsa_wavefront_size32 1
		.amdhsa_uses_dynamic_stack 0
		.amdhsa_enable_private_segment 0
		.amdhsa_system_sgpr_workgroup_id_x 1
		.amdhsa_system_sgpr_workgroup_id_y 1
		.amdhsa_system_sgpr_workgroup_id_z 1
		.amdhsa_system_sgpr_workgroup_info 0
		.amdhsa_system_vgpr_workitem_id 0
		.amdhsa_next_free_vgpr 18
		.amdhsa_next_free_sgpr 36
		.amdhsa_named_barrier_count 0
		.amdhsa_reserve_vcc 1
		.amdhsa_float_round_mode_32 0
		.amdhsa_float_round_mode_16_64 0
		.amdhsa_float_denorm_mode_32 3
		.amdhsa_float_denorm_mode_16_64 3
		.amdhsa_fp16_overflow 0
		.amdhsa_memory_ordered 1
		.amdhsa_forward_progress 1
		.amdhsa_inst_pref_size 34
		.amdhsa_round_robin_scheduling 0
		.amdhsa_exception_fp_ieee_invalid_op 0
		.amdhsa_exception_fp_denorm_src 0
		.amdhsa_exception_fp_ieee_div_zero 0
		.amdhsa_exception_fp_ieee_overflow 0
		.amdhsa_exception_fp_ieee_underflow 0
		.amdhsa_exception_fp_ieee_inexact 0
		.amdhsa_exception_int_div_zero 0
	.end_amdhsa_kernel
	.section	.text._ZL12soft_max_f32ILb1ELi1024ELi1024E6__halfEvPKfPKT2_S2_Pf15soft_max_params,"axG",@progbits,_ZL12soft_max_f32ILb1ELi1024ELi1024E6__halfEvPKfPKT2_S2_Pf15soft_max_params,comdat
.Lfunc_end6:
	.size	_ZL12soft_max_f32ILb1ELi1024ELi1024E6__halfEvPKfPKT2_S2_Pf15soft_max_params, .Lfunc_end6-_ZL12soft_max_f32ILb1ELi1024ELi1024E6__halfEvPKfPKT2_S2_Pf15soft_max_params
                                        ; -- End function
	.set _ZL12soft_max_f32ILb1ELi1024ELi1024E6__halfEvPKfPKT2_S2_Pf15soft_max_params.num_vgpr, 18
	.set _ZL12soft_max_f32ILb1ELi1024ELi1024E6__halfEvPKfPKT2_S2_Pf15soft_max_params.num_agpr, 0
	.set _ZL12soft_max_f32ILb1ELi1024ELi1024E6__halfEvPKfPKT2_S2_Pf15soft_max_params.numbered_sgpr, 36
	.set _ZL12soft_max_f32ILb1ELi1024ELi1024E6__halfEvPKfPKT2_S2_Pf15soft_max_params.num_named_barrier, 0
	.set _ZL12soft_max_f32ILb1ELi1024ELi1024E6__halfEvPKfPKT2_S2_Pf15soft_max_params.private_seg_size, 0
	.set _ZL12soft_max_f32ILb1ELi1024ELi1024E6__halfEvPKfPKT2_S2_Pf15soft_max_params.uses_vcc, 1
	.set _ZL12soft_max_f32ILb1ELi1024ELi1024E6__halfEvPKfPKT2_S2_Pf15soft_max_params.uses_flat_scratch, 0
	.set _ZL12soft_max_f32ILb1ELi1024ELi1024E6__halfEvPKfPKT2_S2_Pf15soft_max_params.has_dyn_sized_stack, 0
	.set _ZL12soft_max_f32ILb1ELi1024ELi1024E6__halfEvPKfPKT2_S2_Pf15soft_max_params.has_recursion, 0
	.set _ZL12soft_max_f32ILb1ELi1024ELi1024E6__halfEvPKfPKT2_S2_Pf15soft_max_params.has_indirect_call, 0
	.section	.AMDGPU.csdata,"",@progbits
; Kernel info:
; codeLenInByte = 4352
; TotalNumSgprs: 38
; NumVgprs: 18
; ScratchSize: 0
; MemoryBound: 0
; FloatMode: 240
; IeeeMode: 1
; LDSByteSize: 0 bytes/workgroup (compile time only)
; SGPRBlocks: 0
; VGPRBlocks: 1
; NumSGPRsForWavesPerEU: 38
; NumVGPRsForWavesPerEU: 18
; NamedBarCnt: 0
; Occupancy: 16
; WaveLimiterHint : 1
; COMPUTE_PGM_RSRC2:SCRATCH_EN: 0
; COMPUTE_PGM_RSRC2:USER_SGPR: 2
; COMPUTE_PGM_RSRC2:TRAP_HANDLER: 0
; COMPUTE_PGM_RSRC2:TGID_X_EN: 1
; COMPUTE_PGM_RSRC2:TGID_Y_EN: 1
; COMPUTE_PGM_RSRC2:TGID_Z_EN: 1
; COMPUTE_PGM_RSRC2:TIDIG_COMP_CNT: 0
	.section	.text._ZL12soft_max_f32ILb1ELi512ELi512E6__halfEvPKfPKT2_S2_Pf15soft_max_params,"axG",@progbits,_ZL12soft_max_f32ILb1ELi512ELi512E6__halfEvPKfPKT2_S2_Pf15soft_max_params,comdat
	.globl	_ZL12soft_max_f32ILb1ELi512ELi512E6__halfEvPKfPKT2_S2_Pf15soft_max_params ; -- Begin function _ZL12soft_max_f32ILb1ELi512ELi512E6__halfEvPKfPKT2_S2_Pf15soft_max_params
	.p2align	8
	.type	_ZL12soft_max_f32ILb1ELi512ELi512E6__halfEvPKfPKT2_S2_Pf15soft_max_params,@function
_ZL12soft_max_f32ILb1ELi512ELi512E6__halfEvPKfPKT2_S2_Pf15soft_max_params: ; @_ZL12soft_max_f32ILb1ELi512ELi512E6__halfEvPKfPKT2_S2_Pf15soft_max_params
; %bb.0:
	s_clause 0x1
	s_load_b256 s[4:11], s[0:1], 0x68
	s_load_b64 s[12:13], s[0:1], 0x88
	s_bfe_u32 s2, ttmp6, 0x40010
	s_and_b32 s3, ttmp7, 0xffff
	s_add_co_i32 s2, s2, 1
	s_bfe_u32 s14, ttmp6, 0x40004
	s_mul_i32 s2, s3, s2
	s_getreg_b32 s28, hwreg(HW_REG_IB_STS2, 6, 4)
	s_add_co_i32 s14, s14, s2
	s_cmp_eq_u32 s28, 0
	s_cselect_b32 s2, s3, s14
	s_mov_b32 s3, 0
	s_wait_kmcnt 0x0
	s_and_b64 s[14:15], s[10:11], 0xffffffff00000000
	s_delay_alu instid0(SALU_CYCLE_1)
	s_cmp_lg_u64 s[14:15], 0
	s_cbranch_scc0 .LBB7_10
; %bb.1:
	s_ashr_i32 s14, s11, 31
	s_mov_b32 s21, s3
	s_mov_b32 s15, s14
	s_mov_b32 s25, s3
	s_add_nc_u64 s[16:17], s[10:11], s[14:15]
	s_delay_alu instid0(SALU_CYCLE_1) | instskip(NEXT) | instid1(SALU_CYCLE_1)
	s_xor_b64 s[14:15], s[16:17], s[14:15]
	s_cvt_f32_u32 s11, s14
	s_cvt_f32_u32 s16, s15
	s_sub_nc_u64 s[18:19], 0, s[14:15]
	s_delay_alu instid0(SALU_CYCLE_2) | instskip(NEXT) | instid1(SALU_CYCLE_3)
	s_fmamk_f32 s11, s16, 0x4f800000, s11
	v_s_rcp_f32 s11, s11
	s_delay_alu instid0(TRANS32_DEP_1) | instskip(NEXT) | instid1(SALU_CYCLE_3)
	s_mul_f32 s11, s11, 0x5f7ffffc
	s_mul_f32 s16, s11, 0x2f800000
	s_delay_alu instid0(SALU_CYCLE_3) | instskip(NEXT) | instid1(SALU_CYCLE_3)
	s_trunc_f32 s16, s16
	s_fmamk_f32 s11, s16, 0xcf800000, s11
	s_cvt_u32_f32 s17, s16
	s_delay_alu instid0(SALU_CYCLE_2) | instskip(NEXT) | instid1(SALU_CYCLE_3)
	s_cvt_u32_f32 s16, s11
	s_mul_u64 s[22:23], s[18:19], s[16:17]
	s_delay_alu instid0(SALU_CYCLE_1)
	s_mul_hi_u32 s27, s16, s23
	s_mul_i32 s26, s16, s23
	s_mul_hi_u32 s20, s16, s22
	s_mul_i32 s24, s17, s22
	s_add_nc_u64 s[20:21], s[20:21], s[26:27]
	s_mul_hi_u32 s11, s17, s22
	s_mul_hi_u32 s29, s17, s23
	s_add_co_u32 s20, s20, s24
	s_add_co_ci_u32 s24, s21, s11
	s_mul_i32 s22, s17, s23
	s_add_co_ci_u32 s23, s29, 0
	s_delay_alu instid0(SALU_CYCLE_1) | instskip(SKIP_3) | instid1(SALU_CYCLE_1)
	s_add_nc_u64 s[20:21], s[24:25], s[22:23]
	s_mov_b32 s23, s3
	s_add_co_u32 s16, s16, s20
	s_cselect_b32 s11, -1, 0
	s_cmp_lg_u32 s11, 0
	s_add_co_ci_u32 s17, s17, s21
	s_mov_b32 s21, s3
	s_mul_u64 s[18:19], s[18:19], s[16:17]
	s_delay_alu instid0(SALU_CYCLE_1)
	s_mul_hi_u32 s25, s16, s19
	s_mul_i32 s24, s16, s19
	s_mul_hi_u32 s20, s16, s18
	s_mul_i32 s22, s17, s18
	s_add_nc_u64 s[20:21], s[20:21], s[24:25]
	s_mul_hi_u32 s11, s17, s18
	s_mul_hi_u32 s26, s17, s19
	s_mul_i32 s18, s17, s19
	s_add_co_u32 s19, s20, s22
	s_add_co_ci_u32 s22, s21, s11
	s_add_co_ci_u32 s19, s26, 0
	s_add_nc_u64 s[20:21], s[2:3], 0
	s_add_nc_u64 s[18:19], s[22:23], s[18:19]
	s_delay_alu instid0(SALU_CYCLE_1) | instskip(SKIP_1) | instid1(SALU_CYCLE_1)
	s_add_co_u32 s11, s16, s18
	s_cselect_b32 s16, -1, 0
	s_cmp_lg_u32 s16, 0
	s_add_co_ci_u32 s18, s17, s19
	s_xor_b64 s[16:17], s[20:21], 0
	s_mov_b32 s19, s3
	s_mul_hi_u32 s21, s16, s18
	s_mul_i32 s20, s16, s18
	s_mul_hi_u32 s22, s16, s11
	s_mul_hi_u32 s25, s17, s11
	s_mul_i32 s11, s17, s11
	s_add_nc_u64 s[20:21], s[22:23], s[20:21]
	s_mul_hi_u32 s24, s17, s18
	s_add_co_u32 s11, s20, s11
	s_mul_i32 s22, s17, s18
	s_add_co_ci_u32 s18, s21, s25
	s_add_co_ci_u32 s23, s24, 0
	s_delay_alu instid0(SALU_CYCLE_1) | instskip(NEXT) | instid1(SALU_CYCLE_1)
	s_add_nc_u64 s[18:19], s[18:19], s[22:23]
	s_and_b64 s[20:21], s[18:19], 0xffffffff00000000
	s_delay_alu instid0(SALU_CYCLE_1) | instskip(NEXT) | instid1(SALU_CYCLE_1)
	s_or_b32 s20, s20, s18
	s_mul_u64 s[18:19], s[14:15], s[20:21]
	s_delay_alu instid0(SALU_CYCLE_1)
	s_sub_co_u32 s11, s16, s18
	s_cselect_b32 s16, -1, 0
	s_sub_co_i32 s18, s17, s19
	s_cmp_lg_u32 s16, 0
	s_sub_co_ci_u32 s18, s18, s15
	s_sub_co_u32 s20, s11, s14
	s_cselect_b32 s21, -1, 0
	s_delay_alu instid0(SALU_CYCLE_1) | instskip(SKIP_1) | instid1(SALU_CYCLE_1)
	s_cmp_lg_u32 s21, 0
	s_sub_co_ci_u32 s22, s18, 0
	s_cmp_ge_u32 s22, s15
	s_cselect_b32 s23, -1, 0
	s_cmp_ge_u32 s20, s14
	s_cselect_b32 s24, -1, 0
	s_cmp_eq_u32 s22, s15
	s_cselect_b32 s23, s24, s23
	s_cmp_lg_u32 s21, 0
	s_sub_co_ci_u32 s18, s18, s15
	s_sub_co_u32 s21, s20, s14
	s_cselect_b32 s24, -1, 0
	s_delay_alu instid0(SALU_CYCLE_1)
	s_cmp_lg_u32 s24, 0
	s_sub_co_ci_u32 s18, s18, 0
	s_cmp_lg_u32 s23, 0
	s_cselect_b32 s20, s21, s20
	s_cselect_b32 s18, s18, s22
	s_cmp_lg_u32 s16, 0
	s_sub_co_ci_u32 s16, s17, s19
	s_delay_alu instid0(SALU_CYCLE_1)
	s_cmp_ge_u32 s16, s15
	s_cselect_b32 s17, -1, 0
	s_cmp_ge_u32 s11, s14
	s_cselect_b32 s14, -1, 0
	s_cmp_eq_u32 s16, s15
	s_cselect_b32 s14, s14, s17
	s_delay_alu instid0(SALU_CYCLE_1) | instskip(SKIP_2) | instid1(SALU_CYCLE_1)
	s_cmp_lg_u32 s14, 0
	s_cselect_b32 s15, s18, s16
	s_cselect_b32 s14, s20, s11
	s_xor_b64 s[14:15], s[14:15], 0
	s_delay_alu instid0(SALU_CYCLE_1)
	s_sub_nc_u64 s[20:21], s[14:15], 0
	s_and_not1_b32 vcc_lo, exec_lo, s3
	s_cbranch_vccnz .LBB7_3
.LBB7_2:
	v_cvt_f32_u32_e32 v1, s10
	s_sub_co_i32 s11, 0, s10
	s_mov_b32 s21, 0
	s_delay_alu instid0(VALU_DEP_1) | instskip(SKIP_1) | instid1(TRANS32_DEP_1)
	v_rcp_iflag_f32_e32 v1, v1
	v_nop
	v_mul_f32_e32 v1, 0x4f7ffffe, v1
	s_delay_alu instid0(VALU_DEP_1) | instskip(NEXT) | instid1(VALU_DEP_1)
	v_cvt_u32_f32_e32 v1, v1
	v_readfirstlane_b32 s3, v1
	s_mul_i32 s11, s11, s3
	s_delay_alu instid0(SALU_CYCLE_1) | instskip(NEXT) | instid1(SALU_CYCLE_1)
	s_mul_hi_u32 s11, s3, s11
	s_add_co_i32 s3, s3, s11
	s_delay_alu instid0(SALU_CYCLE_1) | instskip(NEXT) | instid1(SALU_CYCLE_1)
	s_mul_hi_u32 s3, s2, s3
	s_mul_i32 s3, s3, s10
	s_delay_alu instid0(SALU_CYCLE_1) | instskip(NEXT) | instid1(SALU_CYCLE_1)
	s_sub_co_i32 s3, s2, s3
	s_sub_co_i32 s11, s3, s10
	s_cmp_ge_u32 s3, s10
	s_cselect_b32 s3, s11, s3
	s_delay_alu instid0(SALU_CYCLE_1)
	s_sub_co_i32 s11, s3, s10
	s_cmp_ge_u32 s3, s10
	s_cselect_b32 s20, s11, s3
.LBB7_3:
	s_load_b64 s[10:11], s[0:1], 0x90
	s_bfe_u32 s3, ttmp6, 0x40014
	s_lshr_b32 s14, ttmp7, 16
	s_add_co_i32 s3, s3, 1
	s_bfe_u32 s15, ttmp6, 0x40008
	s_mul_i32 s3, s14, s3
	s_mov_b32 s23, 0
	s_add_co_i32 s15, s15, s3
	s_cmp_eq_u32 s28, 0
	s_cselect_b32 s22, s14, s15
	s_and_b64 s[14:15], s[12:13], 0xffffffff00000000
	s_delay_alu instid0(SALU_CYCLE_1)
	s_cmp_lg_u64 s[14:15], 0
	s_cbranch_scc0 .LBB7_11
; %bb.4:
	s_ashr_i32 s14, s13, 31
	s_mov_b32 s25, s23
	s_mov_b32 s15, s14
	;; [unrolled: 1-line block ×3, first 2 shown]
	s_add_nc_u64 s[16:17], s[12:13], s[14:15]
	s_delay_alu instid0(SALU_CYCLE_1) | instskip(NEXT) | instid1(SALU_CYCLE_1)
	s_xor_b64 s[14:15], s[16:17], s[14:15]
	s_cvt_f32_u32 s3, s14
	s_cvt_f32_u32 s13, s15
	s_sub_nc_u64 s[18:19], 0, s[14:15]
	s_delay_alu instid0(SALU_CYCLE_2) | instskip(NEXT) | instid1(SALU_CYCLE_3)
	s_fmamk_f32 s3, s13, 0x4f800000, s3
	v_s_rcp_f32 s3, s3
	s_delay_alu instid0(TRANS32_DEP_1) | instskip(NEXT) | instid1(SALU_CYCLE_3)
	s_mul_f32 s3, s3, 0x5f7ffffc
	s_mul_f32 s13, s3, 0x2f800000
	s_delay_alu instid0(SALU_CYCLE_3) | instskip(NEXT) | instid1(SALU_CYCLE_3)
	s_trunc_f32 s13, s13
	s_fmamk_f32 s3, s13, 0xcf800000, s3
	s_cvt_u32_f32 s17, s13
	s_delay_alu instid0(SALU_CYCLE_2) | instskip(NEXT) | instid1(SALU_CYCLE_3)
	s_cvt_u32_f32 s16, s3
	s_mul_u64 s[26:27], s[18:19], s[16:17]
	s_delay_alu instid0(SALU_CYCLE_1)
	s_mul_hi_u32 s35, s16, s27
	s_mul_i32 s34, s16, s27
	s_mul_hi_u32 s24, s16, s26
	s_mul_i32 s13, s17, s26
	s_add_nc_u64 s[24:25], s[24:25], s[34:35]
	s_mul_hi_u32 s3, s17, s26
	s_mul_hi_u32 s29, s17, s27
	s_add_co_u32 s13, s24, s13
	s_add_co_ci_u32 s30, s25, s3
	s_mul_i32 s26, s17, s27
	s_add_co_ci_u32 s27, s29, 0
	s_delay_alu instid0(SALU_CYCLE_1) | instskip(SKIP_3) | instid1(SALU_CYCLE_1)
	s_add_nc_u64 s[24:25], s[30:31], s[26:27]
	s_mov_b32 s27, s23
	s_add_co_u32 s16, s16, s24
	s_cselect_b32 s3, -1, 0
	s_cmp_lg_u32 s3, 0
	s_add_co_ci_u32 s17, s17, s25
	s_mov_b32 s25, s23
	s_mul_u64 s[18:19], s[18:19], s[16:17]
	s_delay_alu instid0(SALU_CYCLE_1)
	s_mul_hi_u32 s31, s16, s19
	s_mul_i32 s30, s16, s19
	s_mul_hi_u32 s24, s16, s18
	s_mul_i32 s13, s17, s18
	s_add_nc_u64 s[24:25], s[24:25], s[30:31]
	s_mul_hi_u32 s3, s17, s18
	s_mul_hi_u32 s29, s17, s19
	s_add_co_u32 s13, s24, s13
	s_add_co_ci_u32 s26, s25, s3
	s_mul_i32 s18, s17, s19
	s_add_co_ci_u32 s19, s29, 0
	s_add_nc_u64 s[24:25], s[22:23], 0
	s_add_nc_u64 s[18:19], s[26:27], s[18:19]
	s_delay_alu instid0(SALU_CYCLE_1) | instskip(SKIP_1) | instid1(SALU_CYCLE_1)
	s_add_co_u32 s3, s16, s18
	s_cselect_b32 s13, -1, 0
	s_cmp_lg_u32 s13, 0
	s_add_co_ci_u32 s13, s17, s19
	s_xor_b64 s[16:17], s[24:25], 0
	s_mov_b32 s19, s23
	s_mul_hi_u32 s25, s16, s13
	s_mul_i32 s24, s16, s13
	s_mul_hi_u32 s26, s16, s3
	s_mul_hi_u32 s18, s17, s3
	s_mul_i32 s3, s17, s3
	s_add_nc_u64 s[24:25], s[26:27], s[24:25]
	s_mul_hi_u32 s29, s17, s13
	s_add_co_u32 s3, s24, s3
	s_add_co_ci_u32 s18, s25, s18
	s_mul_i32 s26, s17, s13
	s_add_co_ci_u32 s27, s29, 0
	s_delay_alu instid0(SALU_CYCLE_1) | instskip(NEXT) | instid1(SALU_CYCLE_1)
	s_add_nc_u64 s[18:19], s[18:19], s[26:27]
	s_and_b64 s[24:25], s[18:19], 0xffffffff00000000
	s_delay_alu instid0(SALU_CYCLE_1) | instskip(NEXT) | instid1(SALU_CYCLE_1)
	s_or_b32 s24, s24, s18
	s_mul_u64 s[18:19], s[14:15], s[24:25]
	s_delay_alu instid0(SALU_CYCLE_1)
	s_sub_co_u32 s3, s16, s18
	s_cselect_b32 s13, -1, 0
	s_sub_co_i32 s16, s17, s19
	s_cmp_lg_u32 s13, 0
	s_sub_co_ci_u32 s16, s16, s15
	s_sub_co_u32 s18, s3, s14
	s_cselect_b32 s24, -1, 0
	s_delay_alu instid0(SALU_CYCLE_1) | instskip(SKIP_1) | instid1(SALU_CYCLE_1)
	s_cmp_lg_u32 s24, 0
	s_sub_co_ci_u32 s25, s16, 0
	s_cmp_ge_u32 s25, s15
	s_cselect_b32 s26, -1, 0
	s_cmp_ge_u32 s18, s14
	s_cselect_b32 s27, -1, 0
	s_cmp_eq_u32 s25, s15
	s_cselect_b32 s26, s27, s26
	s_cmp_lg_u32 s24, 0
	s_sub_co_ci_u32 s16, s16, s15
	s_sub_co_u32 s24, s18, s14
	s_cselect_b32 s27, -1, 0
	s_delay_alu instid0(SALU_CYCLE_1)
	s_cmp_lg_u32 s27, 0
	s_sub_co_ci_u32 s16, s16, 0
	s_cmp_lg_u32 s26, 0
	s_cselect_b32 s18, s24, s18
	s_cselect_b32 s16, s16, s25
	s_cmp_lg_u32 s13, 0
	s_sub_co_ci_u32 s13, s17, s19
	s_delay_alu instid0(SALU_CYCLE_1)
	s_cmp_ge_u32 s13, s15
	s_cselect_b32 s17, -1, 0
	s_cmp_ge_u32 s3, s14
	s_cselect_b32 s14, -1, 0
	s_cmp_eq_u32 s13, s15
	s_cselect_b32 s14, s14, s17
	s_delay_alu instid0(SALU_CYCLE_1) | instskip(SKIP_2) | instid1(SALU_CYCLE_1)
	s_cmp_lg_u32 s14, 0
	s_cselect_b32 s15, s16, s13
	s_cselect_b32 s14, s18, s3
	s_xor_b64 s[14:15], s[14:15], 0
	s_delay_alu instid0(SALU_CYCLE_1)
	s_sub_nc_u64 s[24:25], s[14:15], 0
	s_and_not1_b32 vcc_lo, exec_lo, s23
	s_cbranch_vccnz .LBB7_6
.LBB7_5:
	v_cvt_f32_u32_e32 v1, s12
	s_sub_co_i32 s13, 0, s12
	s_mov_b32 s25, 0
	s_delay_alu instid0(VALU_DEP_1) | instskip(SKIP_1) | instid1(TRANS32_DEP_1)
	v_rcp_iflag_f32_e32 v1, v1
	v_nop
	v_mul_f32_e32 v1, 0x4f7ffffe, v1
	s_delay_alu instid0(VALU_DEP_1) | instskip(NEXT) | instid1(VALU_DEP_1)
	v_cvt_u32_f32_e32 v1, v1
	v_readfirstlane_b32 s3, v1
	s_mul_i32 s13, s13, s3
	s_delay_alu instid0(SALU_CYCLE_1) | instskip(NEXT) | instid1(SALU_CYCLE_1)
	s_mul_hi_u32 s13, s3, s13
	s_add_co_i32 s3, s3, s13
	s_delay_alu instid0(SALU_CYCLE_1) | instskip(NEXT) | instid1(SALU_CYCLE_1)
	s_mul_hi_u32 s3, s22, s3
	s_mul_i32 s3, s3, s12
	s_delay_alu instid0(SALU_CYCLE_1) | instskip(NEXT) | instid1(SALU_CYCLE_1)
	s_sub_co_i32 s3, s22, s3
	s_sub_co_i32 s13, s3, s12
	s_cmp_ge_u32 s3, s12
	s_cselect_b32 s3, s13, s3
	s_delay_alu instid0(SALU_CYCLE_1)
	s_sub_co_i32 s13, s3, s12
	s_cmp_ge_u32 s3, s12
	s_cselect_b32 s24, s13, s3
.LBB7_6:
	s_load_b64 s[26:27], s[0:1], 0xa0
	v_mov_b32_e32 v1, 1.0
	s_wait_kmcnt 0x0
	s_cmp_le_f32 s11, 0
	s_cbranch_scc1 .LBB7_8
; %bb.7:
	s_clause 0x1
	s_load_b32 s3, s[0:1], 0x28
	s_load_b64 s[12:13], s[0:1], 0x98
	s_add_co_i32 s14, s2, 1
	s_wait_kmcnt 0x0
	s_sub_co_i32 s11, s2, s3
	s_delay_alu instid0(SALU_CYCLE_1) | instskip(NEXT) | instid1(SALU_CYCLE_1)
	s_lshl_b32 s11, s11, 1
	s_or_b32 s11, s11, 1
	s_cmp_lt_u32 s2, s3
	s_cselect_b32 s3, s14, s11
	s_cselect_b32 s12, s12, s13
	s_cvt_f32_i32 s3, s3
	s_cmp_neq_f32 s12, 1.0
	s_delay_alu instid0(SALU_CYCLE_2) | instskip(NEXT) | instid1(SALU_CYCLE_1)
	s_cselect_b32 s11, s3, 1.0
	s_cmp_neq_f32 s11, 0
	s_cselect_b32 s3, s12, 1.0
	s_delay_alu instid0(SALU_CYCLE_1) | instskip(NEXT) | instid1(VALU_DEP_1)
	v_cvt_f64_f32_e64 v[2:3], |s3|
	v_frexp_exp_i32_f64_e32 v1, v[2:3]
	v_frexp_mant_f32_e64 v2, |s3|
	s_delay_alu instid0(VALU_DEP_1) | instskip(SKIP_2) | instid1(SALU_CYCLE_1)
	v_readfirstlane_b32 s12, v2
	s_cmp_lt_f32 s12, 0x3f2aaaab
	s_cselect_b32 vcc_lo, -1, 0
	s_and_b32 s13, vcc_lo, exec_lo
	s_cselect_b32 s13, 2.0, 1.0
	s_delay_alu instid0(SALU_CYCLE_1) | instskip(NEXT) | instid1(SALU_CYCLE_3)
	s_mul_f32 s12, s12, s13
	s_add_f32 s13, s12, 1.0
	s_add_f32 s15, s12, -1.0
	s_delay_alu instid0(SALU_CYCLE_2) | instskip(SKIP_2) | instid1(SALU_CYCLE_2)
	v_s_rcp_f32 s14, s13
	s_add_f32 s18, s13, -1.0
	v_subrev_co_ci_u32_e64 v1, null, 0, v1, vcc_lo
	s_sub_f32 s12, s12, s18
	s_delay_alu instid0(TRANS32_DEP_1) | instskip(SKIP_1) | instid1(SALU_CYCLE_2)
	s_mul_f32 s16, s15, s14
	v_cvt_f32_i32_e32 v1, v1
	s_mul_f32 s17, s13, s16
	s_delay_alu instid0(SALU_CYCLE_3) | instskip(SKIP_1) | instid1(SALU_CYCLE_1)
	v_dual_mov_b32 v3, s15 :: v_dual_mov_b32 v4, s17
	s_xor_b32 s19, s17, 0x80000000
	s_fmac_f32 s19, s16, s13
	s_delay_alu instid0(SALU_CYCLE_3) | instskip(NEXT) | instid1(SALU_CYCLE_3)
	s_fmac_f32 s19, s16, s12
	s_add_f32 s12, s17, s19
	v_mov_b32_e32 v6, s19
	s_mov_b32 s17, 0x3e76c4e1
	s_delay_alu instid0(SALU_CYCLE_1) | instskip(SKIP_1) | instid1(SALU_CYCLE_2)
	s_sub_f32 s13, s15, s12
	v_dual_mov_b32 v2, s12 :: v_dual_mov_b32 v7, s12
	v_mov_b32_e32 v5, s13
	s_delay_alu instid0(VALU_DEP_1) | instskip(NEXT) | instid1(VALU_DEP_1)
	v_pk_add_f32 v[2:3], v[2:3], v[4:5] neg_lo:[0,1] neg_hi:[0,1]
	v_pk_add_f32 v[2:3], v[2:3], v[6:7] neg_lo:[0,1] neg_hi:[0,1]
	s_delay_alu instid0(VALU_DEP_1) | instskip(NEXT) | instid1(VALU_DEP_2)
	v_readfirstlane_b32 s12, v3
	v_readfirstlane_b32 s15, v2
	s_add_f32 s12, s15, s12
	s_delay_alu instid0(SALU_CYCLE_3) | instskip(NEXT) | instid1(SALU_CYCLE_3)
	s_add_f32 s12, s13, s12
	s_mul_f32 s13, s14, s12
	s_delay_alu instid0(SALU_CYCLE_3) | instskip(NEXT) | instid1(SALU_CYCLE_3)
	s_add_f32 s12, s16, s13
	s_sub_f32 s14, s12, s16
	s_mul_f32 s15, s12, s12
	s_delay_alu instid0(SALU_CYCLE_2) | instskip(NEXT) | instid1(SALU_CYCLE_2)
	s_sub_f32 s16, s13, s14
	s_xor_b32 s13, s15, 0x80000000
	s_delay_alu instid0(SALU_CYCLE_1) | instskip(NEXT) | instid1(SALU_CYCLE_1)
	s_fmac_f32 s13, s12, s12
	s_add_f32 s14, s16, s16
	s_delay_alu instid0(SALU_CYCLE_3) | instskip(NEXT) | instid1(SALU_CYCLE_3)
	s_fmac_f32 s13, s12, s14
	s_add_f32 s14, s15, s13
	s_delay_alu instid0(SALU_CYCLE_3) | instskip(SKIP_1) | instid1(SALU_CYCLE_2)
	s_fmaak_f32 s17, s14, s17, 0x3e91f4c4
	s_sub_f32 s15, s14, s15
	s_fmaak_f32 s17, s14, s17, 0x3ecccdef
	s_delay_alu instid0(SALU_CYCLE_2) | instskip(NEXT) | instid1(SALU_CYCLE_2)
	s_sub_f32 s23, s13, s15
	s_mul_f32 s18, s14, s17
	s_delay_alu instid0(SALU_CYCLE_3) | instskip(NEXT) | instid1(SALU_CYCLE_1)
	s_xor_b32 s19, s18, 0x80000000
	s_fmac_f32 s19, s14, s17
	s_delay_alu instid0(SALU_CYCLE_3) | instskip(NEXT) | instid1(SALU_CYCLE_3)
	s_fmac_f32 s19, s23, s17
	s_add_f32 s15, s18, s19
	s_delay_alu instid0(SALU_CYCLE_3) | instskip(SKIP_1) | instid1(SALU_CYCLE_2)
	s_sub_f32 s13, s15, s18
	s_add_f32 s17, s15, 0x3f2aaaaa
	s_sub_f32 s13, s19, s13
	s_delay_alu instid0(SALU_CYCLE_2) | instskip(NEXT) | instid1(SALU_CYCLE_2)
	s_add_f32 s18, s17, 0xbf2aaaaa
	s_add_f32 s13, s13, 0x31739010
	s_delay_alu instid0(SALU_CYCLE_2) | instskip(NEXT) | instid1(SALU_CYCLE_2)
	s_sub_f32 s15, s15, s18
	v_mov_b64_e32 v[2:3], s[12:13]
	s_delay_alu instid0(SALU_CYCLE_2) | instskip(NEXT) | instid1(VALU_DEP_1)
	v_mov_b64_e32 v[4:5], s[14:15]
	v_pk_mul_f32 v[6:7], v[2:3], v[4:5]
	v_pk_add_f32 v[2:3], v[2:3], v[4:5]
	v_mov_b32_e32 v9, s17
	s_delay_alu instid0(VALU_DEP_3) | instskip(NEXT) | instid1(VALU_DEP_3)
	v_xor_b32_e32 v8, 0x80000000, v6
	v_mov_b32_e32 v7, v3
	s_delay_alu instid0(VALU_DEP_2) | instskip(NEXT) | instid1(VALU_DEP_1)
	v_fmac_f32_e64 v8, s14, s12
	v_fmac_f32_e64 v8, s14, s16
	s_delay_alu instid0(VALU_DEP_1) | instskip(NEXT) | instid1(VALU_DEP_1)
	v_fmac_f32_e64 v8, s23, s12
	v_pk_add_f32 v[4:5], v[6:7], v[8:9]
	s_delay_alu instid0(VALU_DEP_1) | instskip(SKIP_1) | instid1(VALU_DEP_2)
	v_dual_mov_b32 v2, v5 :: v_dual_sub_f32 v7, s17, v5
	v_mul_f32_e32 v12, 0x3f317218, v1
	v_pk_mul_f32 v[10:11], v[4:5], v[2:3]
	s_delay_alu instid0(VALU_DEP_3) | instskip(NEXT) | instid1(VALU_DEP_3)
	v_add_f32_e32 v3, v3, v7
	v_xor_b32_e32 v7, 0x80000000, v12
	s_delay_alu instid0(VALU_DEP_3) | instskip(NEXT) | instid1(VALU_DEP_2)
	v_xor_b32_e32 v2, 0x80000000, v10
	v_dual_sub_f32 v6, v4, v6 :: v_dual_fmac_f32 v7, 0x3f317218, v1
	s_delay_alu instid0(VALU_DEP_2) | instskip(NEXT) | instid1(VALU_DEP_2)
	v_fmac_f32_e32 v2, v4, v5
	v_sub_f32_e32 v6, v8, v6
	s_delay_alu instid0(VALU_DEP_2) | instskip(NEXT) | instid1(VALU_DEP_1)
	v_fmac_f32_e32 v2, v4, v3
	v_fmac_f32_e32 v2, v6, v5
	v_fmamk_f32 v4, v1, 0xb102e308, v7
	v_ldexp_f32 v5, s12, 1
	v_ldexp_f32 v1, s16, 1
	s_delay_alu instid0(VALU_DEP_2) | instskip(NEXT) | instid1(VALU_DEP_1)
	v_dual_add_f32 v13, v10, v2 :: v_dual_mov_b32 v11, v5
	v_pk_add_f32 v[6:7], v[12:13], v[4:5]
	v_dual_mov_b32 v8, v13 :: v_dual_mov_b32 v3, v13
	s_delay_alu instid0(VALU_DEP_2) | instskip(SKIP_1) | instid1(VALU_DEP_2)
	v_dual_mov_b32 v9, v7 :: v_dual_mov_b32 v5, v6
	v_mov_b32_e32 v14, v7
	v_pk_add_f32 v[8:9], v[8:9], v[10:11] neg_lo:[0,1] neg_hi:[0,1]
	s_delay_alu instid0(VALU_DEP_1) | instskip(NEXT) | instid1(VALU_DEP_1)
	v_pk_add_f32 v[2:3], v[2:3], v[8:9] neg_lo:[0,1] neg_hi:[0,1]
	v_add_f32_e32 v1, v1, v2
	s_delay_alu instid0(VALU_DEP_1) | instskip(NEXT) | instid1(VALU_DEP_1)
	v_add_f32_e32 v13, v1, v3
	v_pk_add_f32 v[2:3], v[6:7], v[12:13]
	v_pk_add_f32 v[8:9], v[6:7], v[12:13] neg_lo:[0,1] neg_hi:[0,1]
	s_delay_alu instid0(VALU_DEP_2) | instskip(NEXT) | instid1(VALU_DEP_1)
	v_mov_b32_e32 v9, v3
	v_pk_add_f32 v[10:11], v[4:5], v[8:9]
	v_pk_add_f32 v[4:5], v[4:5], v[8:9] neg_lo:[0,1] neg_hi:[0,1]
	v_dual_mov_b32 v16, v3 :: v_dual_mov_b32 v5, v6
	s_delay_alu instid0(VALU_DEP_3) | instskip(NEXT) | instid1(VALU_DEP_3)
	v_dual_mov_b32 v12, v11 :: v_dual_mov_b32 v17, v11
	v_readfirstlane_b32 s12, v4
	s_delay_alu instid0(VALU_DEP_2) | instskip(NEXT) | instid1(VALU_DEP_2)
	v_pk_add_f32 v[8:9], v[12:13], v[6:7] neg_lo:[0,1] neg_hi:[0,1]
	v_dual_mov_b32 v4, v13 :: v_dual_mov_b32 v10, s12
	s_delay_alu instid0(VALU_DEP_2) | instskip(NEXT) | instid1(VALU_DEP_1)
	v_dual_mov_b32 v15, v8 :: v_dual_mov_b32 v1, v8
	v_pk_add_f32 v[6:7], v[16:17], v[14:15] neg_lo:[0,1] neg_hi:[0,1]
	s_delay_alu instid0(VALU_DEP_2) | instskip(SKIP_1) | instid1(VALU_DEP_3)
	v_pk_add_f32 v[2:3], v[2:3], v[0:1] neg_lo:[0,1] neg_hi:[0,1]
	v_mov_b32_e32 v2, s12
	v_pk_add_f32 v[4:5], v[4:5], v[6:7] neg_lo:[0,1] neg_hi:[0,1]
	s_delay_alu instid0(VALU_DEP_1) | instskip(NEXT) | instid1(VALU_DEP_1)
	v_pk_add_f32 v[2:3], v[2:3], v[4:5]
	v_readfirstlane_b32 s13, v2
	s_delay_alu instid0(VALU_DEP_2) | instskip(NEXT) | instid1(VALU_DEP_1)
	v_mov_b32_e32 v6, v3
	v_pk_add_f32 v[6:7], v[2:3], v[6:7]
	s_delay_alu instid0(VALU_DEP_3) | instskip(NEXT) | instid1(VALU_DEP_2)
	v_mov_b32_e32 v2, s13
	v_pk_add_f32 v[8:9], v[12:13], v[6:7]
	v_mov_b32_e32 v5, v6
	s_delay_alu instid0(VALU_DEP_2) | instskip(NEXT) | instid1(VALU_DEP_1)
	v_readfirstlane_b32 s14, v8
	v_mov_b32_e32 v3, s14
	s_delay_alu instid0(VALU_DEP_1) | instskip(NEXT) | instid1(VALU_DEP_1)
	v_pk_add_f32 v[2:3], v[2:3], v[10:11] neg_lo:[0,1] neg_hi:[0,1]
	v_readfirstlane_b32 s15, v2
	s_delay_alu instid0(VALU_DEP_2) | instskip(SKIP_1) | instid1(VALU_DEP_1)
	v_pk_add_f32 v[2:3], v[4:5], v[2:3] neg_lo:[0,1] neg_hi:[0,1]
	s_sub_f32 s13, s13, s15
	v_readfirstlane_b32 s15, v2
	s_delay_alu instid0(SALU_CYCLE_2) | instskip(SKIP_1) | instid1(SALU_CYCLE_2)
	s_sub_f32 s12, s12, s13
	v_readfirstlane_b32 s13, v3
	s_add_f32 s12, s15, s12
	s_delay_alu instid0(SALU_CYCLE_3) | instskip(NEXT) | instid1(SALU_CYCLE_3)
	s_add_f32 s12, s12, s13
	s_add_f32 s13, s14, s12
	s_delay_alu instid0(SALU_CYCLE_3) | instskip(SKIP_1) | instid1(SALU_CYCLE_2)
	s_mul_f32 s15, s11, s13
	s_sub_f32 s14, s13, s14
	s_xor_b32 s16, s15, 0x80000000
	s_delay_alu instid0(SALU_CYCLE_2) | instskip(SKIP_1) | instid1(SALU_CYCLE_3)
	s_sub_f32 s12, s12, s14
	s_fmac_f32 s16, s11, s13
	s_fmac_f32 s16, s11, s12
	v_cmp_class_f32_e64 s12, s15, 0x204
	s_delay_alu instid0(SALU_CYCLE_2) | instskip(SKIP_1) | instid1(SALU_CYCLE_2)
	s_add_f32 s13, s15, s16
	s_and_b32 s12, s12, exec_lo
	s_sub_f32 s12, s13, s15
	s_cselect_b32 s13, s15, s13
	s_delay_alu instid0(SALU_CYCLE_1) | instskip(NEXT) | instid1(SALU_CYCLE_1)
	s_and_b32 s14, s13, 0x7fffffff
	s_sub_f32 s12, s16, s12
	s_cmp_neq_f32 s14, 0x7f800000
	s_delay_alu instid0(SALU_CYCLE_2) | instskip(SKIP_2) | instid1(SALU_CYCLE_1)
	s_cselect_b32 s12, s12, 0
	s_cmp_eq_f32 s13, 0x42b17218
	s_cselect_b32 s14, 0x37000000, 0
	s_sub_f32 s13, s13, s14
	s_add_f32 s12, s14, s12
	s_delay_alu instid0(SALU_CYCLE_2) | instskip(NEXT) | instid1(SALU_CYCLE_3)
	s_mul_f32 s15, s13, 0x3fb8aa3b
	s_xor_b32 s16, s15, 0x80000000
	s_rndne_f32 s17, s15
	s_fmamk_f32 s16, s13, 0x3fb8aa3b, s16
	s_cmp_nlt_f32 s13, 0xc2ce8ed0
	s_delay_alu instid0(SALU_CYCLE_1) | instskip(NEXT) | instid1(SALU_CYCLE_1)
	s_sub_f32 s15, s15, s17
	s_fmamk_f32 s16, s13, 0x32a5705f, s16
	s_cselect_b32 vcc_lo, -1, 0
	s_cmp_ngt_f32 s13, 0x42b17218
	s_trunc_f32 s13, s11
	s_add_f32 s15, s15, s16
	s_cvt_i32_f32 s16, s17
	s_delay_alu instid0(SALU_CYCLE_2)
	v_s_exp_f32 s15, s15
	v_nop
	s_delay_alu instid0(TRANS32_DEP_1) | instid1(SALU_CYCLE_1)
	v_ldexp_f32 v1, s15, s16
	s_mul_f32 s15, s11, 0.5
	s_delay_alu instid0(VALU_DEP_1) | instskip(SKIP_3) | instid1(VALU_DEP_1)
	v_cndmask_b32_e32 v1, 0, v1, vcc_lo
	s_cselect_b32 vcc_lo, -1, 0
	s_cmp_eq_f32 s13, s11
	s_trunc_f32 s16, s15
	v_cndmask_b32_e32 v1, 0x7f800000, v1, vcc_lo
	s_cselect_b32 s17, -1, 0
	s_delay_alu instid0(SALU_CYCLE_1) | instskip(NEXT) | instid1(VALU_DEP_1)
	s_cmp_neq_f32 s16, s15
	v_fma_f32 v2, s12, v1, v1
	v_cmp_class_f32_e64 vcc_lo, v1, 0x204
	s_cselect_b32 s14, -1, 0
	s_delay_alu instid0(SALU_CYCLE_1)
	s_and_b32 s12, s17, s14
	v_cndmask_b32_e32 v1, v2, v1, vcc_lo
	s_and_b32 s14, s12, exec_lo
	s_cselect_b32 s14, s3, 1.0
	s_cmp_eq_f32 s13, s11
	v_cmp_class_f32_e64 s13, s3, 0x204
	v_bfi_b32 v1, 0x7fffffff, v1, s14
	s_cselect_b32 vcc_lo, -1, 0
	s_cmp_lt_f32 s3, 0
	s_delay_alu instid0(VALU_DEP_1) | instskip(SKIP_2) | instid1(VALU_DEP_1)
	v_cndmask_b32_e32 v2, 0x7fc00000, v1, vcc_lo
	s_cselect_b32 vcc_lo, -1, 0
	s_cmp_eq_f32 s3, 0
	v_cndmask_b32_e32 v1, v1, v2, vcc_lo
	s_cselect_b32 s14, -1, 0
	s_delay_alu instid0(SALU_CYCLE_1) | instskip(SKIP_2) | instid1(SALU_CYCLE_1)
	s_or_b32 vcc_lo, s14, s13
	s_cmp_lt_f32 s11, 0
	s_cselect_b32 s11, -1, 0
	s_xor_b32 s11, s11, s14
	s_delay_alu instid0(SALU_CYCLE_1)
	s_and_b32 s11, s11, exec_lo
	s_cselect_b32 s11, 0, 0x7f800000
	s_and_b32 s12, s12, exec_lo
	s_cselect_b32 s12, s3, 0
	s_cmp_o_f32 s3, s3
	v_mov_b32_e32 v2, s12
	s_delay_alu instid0(VALU_DEP_1) | instskip(NEXT) | instid1(VALU_DEP_1)
	v_bfi_b32 v2, 0x7fffffff, s11, v2
	v_cndmask_b32_e32 v1, v1, v2, vcc_lo
	s_cselect_b32 vcc_lo, -1, 0
	s_delay_alu instid0(VALU_DEP_1)
	v_cndmask_b32_e32 v1, 0x7fc00000, v1, vcc_lo
.LBB7_8:
	s_load_b256 s[12:19], s[0:1], 0x0
	s_wait_kmcnt 0x0
	s_cmp_lg_u64 s[16:17], 0
	s_cselect_b32 s3, -1, 0
	s_cmp_eq_u64 s[16:17], 0
	s_cbranch_scc1 .LBB7_12
; %bb.9:
	s_load_b32 s11, s[16:17], s2 offset:0x0 scale_offset
	s_branch .LBB7_13
.LBB7_10:
                                        ; implicit-def: $sgpr20_sgpr21
	s_branch .LBB7_2
.LBB7_11:
                                        ; implicit-def: $sgpr24_sgpr25
	s_branch .LBB7_5
.LBB7_12:
	s_mov_b32 s11, 0xff800000
.LBB7_13:
	s_bfe_u32 s0, ttmp6, 0x4000c
	s_and_b32 s1, ttmp6, 15
	s_add_co_i32 s0, s0, 1
	s_mul_i32 s22, s27, s22
	s_mul_i32 s0, ttmp9, s0
	v_mov_b32_e32 v8, 0
	s_add_co_i32 s1, s1, s0
	s_cmp_eq_u32 s28, 0
	s_cselect_b32 s0, ttmp9, s1
	s_add_co_i32 s1, s22, s2
	s_delay_alu instid0(SALU_CYCLE_1) | instskip(NEXT) | instid1(SALU_CYCLE_1)
	s_mul_i32 s1, s1, s26
	s_add_co_i32 s22, s1, s0
	s_mov_b32 s1, 0
	s_ashr_i32 s23, s22, 31
	s_delay_alu instid0(SALU_CYCLE_1)
	s_lshl_b64 s[26:27], s[22:23], 11
	s_cmp_eq_u64 s[14:15], 0
	s_add_nc_u64 s[12:13], s[12:13], s[26:27]
	global_load_b32 v2, v0, s[12:13] scale_offset
	s_wait_xcnt 0x0
	s_cselect_b32 s12, -1, 0
	s_cmp_lg_u64 s[14:15], 0
	s_cbranch_scc0 .LBB7_15
; %bb.14:
	s_mul_u64 s[0:1], s[4:5], s[0:1]
	s_mul_u64 s[4:5], s[20:21], s[6:7]
	;; [unrolled: 1-line block ×3, first 2 shown]
	s_add_nc_u64 s[0:1], s[4:5], s[0:1]
	s_delay_alu instid0(SALU_CYCLE_1) | instskip(NEXT) | instid1(SALU_CYCLE_1)
	s_add_nc_u64 s[0:1], s[0:1], s[6:7]
	s_lshr_b64 s[0:1], s[0:1], 1
	s_and_b32 s4, s12, exec_lo
	s_cselect_b32 s1, 0, s1
	s_cselect_b32 s0, 0, s0
	s_delay_alu instid0(SALU_CYCLE_1) | instskip(NEXT) | instid1(SALU_CYCLE_1)
	s_lshl_b64 s[0:1], s[0:1], 1
	s_add_nc_u64 s[0:1], s[14:15], s[0:1]
	global_load_u16 v3, v0, s[0:1] scale_offset
	s_wait_loadcnt 0x0
	v_cvt_f32_f16_e32 v3, v3
	s_delay_alu instid0(VALU_DEP_1)
	v_mul_f32_e32 v8, v1, v3
.LBB7_15:
	v_mbcnt_lo_u32_b32 v1, -1, 0
	s_wait_loadcnt 0x0
	s_delay_alu instid0(VALU_DEP_2) | instskip(SKIP_3) | instid1(VALU_DEP_2)
	v_fmac_f32_e32 v8, s10, v2
	s_wait_kmcnt 0x0
	v_max_num_f32_e64 v2, s11, s11
	v_xor_b32_e32 v3, 16, v1
	v_dual_max_num_f32 v4, v2, v8 :: v_dual_bitop2_b32 v5, 8, v1 bitop3:0x14
	s_delay_alu instid0(VALU_DEP_2) | instskip(SKIP_1) | instid1(VALU_DEP_3)
	v_cmp_gt_i32_e32 vcc_lo, 32, v3
	v_cndmask_b32_e32 v3, v1, v3, vcc_lo
	v_cmp_gt_i32_e32 vcc_lo, 32, v5
	s_delay_alu instid0(VALU_DEP_2) | instskip(SKIP_3) | instid1(VALU_DEP_1)
	v_lshlrev_b32_e32 v2, 2, v3
	ds_bpermute_b32 v3, v2, v4
	s_wait_dscnt 0x0
	v_dual_cndmask_b32 v5, v1, v5 :: v_dual_max_num_f32 v6, v3, v3
	v_dual_lshlrev_b32 v3, 2, v5 :: v_dual_max_num_f32 v5, v4, v6
	ds_bpermute_b32 v4, v3, v5
	s_wait_dscnt 0x0
	v_dual_max_num_f32 v7, v4, v4 :: v_dual_bitop2_b32 v6, 4, v1 bitop3:0x14
	s_delay_alu instid0(VALU_DEP_1) | instskip(SKIP_1) | instid1(VALU_DEP_1)
	v_cmp_gt_i32_e32 vcc_lo, 32, v6
	v_cndmask_b32_e32 v6, v1, v6, vcc_lo
	v_dual_lshlrev_b32 v4, 2, v6 :: v_dual_max_num_f32 v6, v5, v7
	v_xor_b32_e32 v7, 2, v1
	ds_bpermute_b32 v5, v4, v6
	v_cmp_gt_i32_e32 vcc_lo, 32, v7
	s_wait_dscnt 0x0
	v_max_num_f32_e32 v9, v5, v5
	s_delay_alu instid0(VALU_DEP_1) | instskip(NEXT) | instid1(VALU_DEP_1)
	v_dual_cndmask_b32 v7, v1, v7 :: v_dual_max_num_f32 v6, v6, v9
	v_lshlrev_b32_e32 v5, 2, v7
	ds_bpermute_b32 v7, v5, v6
	s_wait_dscnt 0x0
	v_dual_max_num_f32 v7, v7, v7 :: v_dual_bitop2_b32 v9, 1, v1 bitop3:0x14
	s_delay_alu instid0(VALU_DEP_1) | instskip(NEXT) | instid1(VALU_DEP_2)
	v_cmp_gt_i32_e32 vcc_lo, 32, v9
	v_dual_max_num_f32 v10, v6, v7 :: v_dual_cndmask_b32 v1, v1, v9
	v_dual_lshrrev_b32 v7, 3, v0 :: v_dual_bitop2_b32 v9, 31, v0 bitop3:0x40
	s_delay_alu instid0(VALU_DEP_2) | instskip(SKIP_1) | instid1(VALU_DEP_3)
	v_lshlrev_b32_e32 v6, 2, v1
	v_lshl_add_u32 v1, v0, 2, 0
	v_cmp_eq_u32_e32 vcc_lo, 0, v9
	ds_bpermute_b32 v11, v6, v10
	ds_store_b32 v1, v8 offset:128
	s_and_saveexec_b32 s0, vcc_lo
	s_delay_alu instid0(SALU_CYCLE_1)
	s_xor_b32 s0, exec_lo, s0
	s_cbranch_execz .LBB7_17
; %bb.16:
	s_wait_dscnt 0x1
	v_dual_max_num_f32 v8, v11, v11 :: v_dual_max_num_f32 v10, v10, v10
	s_delay_alu instid0(VALU_DEP_1)
	v_dual_max_num_f32 v8, v10, v8 :: v_dual_add_nc_u32 v10, 0, v7
	ds_store_b32 v10, v8
.LBB7_17:
	s_or_b32 exec_lo, exec_lo, s0
	v_cmp_gt_u32_e64 s0, 16, v9
	v_mov_b32_e32 v10, 0xff800000
	v_lshl_add_u32 v8, v9, 2, 0
	s_wait_dscnt 0x0
	s_barrier_signal -1
	s_barrier_wait -1
	s_and_saveexec_b32 s1, s0
; %bb.18:
	ds_load_b32 v10, v8
; %bb.19:
	s_or_b32 exec_lo, exec_lo, s1
	s_wait_dscnt 0x0
	ds_bpermute_b32 v9, v2, v10
	v_max_num_f32_e32 v10, v10, v10
	ds_load_b32 v11, v1 offset:128
	s_wait_dscnt 0x1
	v_max_num_f32_e32 v9, v9, v9
	s_delay_alu instid0(VALU_DEP_1) | instskip(SKIP_3) | instid1(VALU_DEP_1)
	v_max_num_f32_e32 v9, v10, v9
	ds_bpermute_b32 v10, v3, v9
	s_wait_dscnt 0x0
	v_max_num_f32_e32 v10, v10, v10
	v_max_num_f32_e32 v9, v9, v10
	ds_bpermute_b32 v10, v4, v9
	s_wait_dscnt 0x0
	v_max_num_f32_e32 v10, v10, v10
	s_delay_alu instid0(VALU_DEP_1) | instskip(SKIP_3) | instid1(VALU_DEP_1)
	v_max_num_f32_e32 v9, v9, v10
	ds_bpermute_b32 v10, v5, v9
	s_wait_dscnt 0x0
	v_max_num_f32_e32 v10, v10, v10
	v_max_num_f32_e32 v9, v9, v10
	ds_bpermute_b32 v10, v6, v9
	s_wait_dscnt 0x0
	v_max_num_f32_e32 v10, v10, v10
	s_delay_alu instid0(VALU_DEP_1) | instskip(NEXT) | instid1(VALU_DEP_1)
	v_max_num_f32_e32 v9, v9, v10
	v_sub_f32_e32 v10, v11, v9
	s_delay_alu instid0(VALU_DEP_1) | instskip(NEXT) | instid1(VALU_DEP_1)
	v_mul_f32_e32 v11, 0x3fb8aa3b, v10
	v_fma_f32 v12, 0x3fb8aa3b, v10, -v11
	v_rndne_f32_e32 v13, v11
	s_delay_alu instid0(VALU_DEP_1) | instskip(NEXT) | instid1(VALU_DEP_1)
	v_dual_fmamk_f32 v12, v10, 0x32a5705f, v12 :: v_dual_sub_f32 v11, v11, v13
	v_add_f32_e32 v11, v11, v12
	v_cvt_i32_f32_e32 v12, v13
	v_cmp_ngt_f32_e64 s1, 0xc2ce8ed0, v10
	s_delay_alu instid0(VALU_DEP_3) | instskip(SKIP_1) | instid1(TRANS32_DEP_1)
	v_exp_f32_e32 v11, v11
	v_nop
	v_ldexp_f32 v11, v11, v12
	s_delay_alu instid0(VALU_DEP_1) | instskip(SKIP_1) | instid1(VALU_DEP_1)
	v_cndmask_b32_e64 v11, 0, v11, s1
	v_cmp_nlt_f32_e64 s1, 0x42b17218, v10
	v_cndmask_b32_e64 v12, 0x7f800000, v11, s1
	ds_bpermute_b32 v10, v2, v12
	ds_store_b32 v1, v12 offset:128
	s_wait_dscnt 0x1
	v_add_f32_e32 v10, v12, v10
	ds_bpermute_b32 v11, v3, v10
	s_wait_dscnt 0x0
	v_add_f32_e32 v10, v10, v11
	ds_bpermute_b32 v11, v4, v10
	;; [unrolled: 3-line block ×4, first 2 shown]
	s_and_saveexec_b32 s1, vcc_lo
	s_cbranch_execz .LBB7_21
; %bb.20:
	s_wait_dscnt 0x0
	v_add_f32_e32 v10, v10, v11
	v_add_nc_u32_e32 v7, 0, v7
	ds_store_b32 v7, v10
.LBB7_21:
	s_or_b32 exec_lo, exec_lo, s1
	v_mov_b32_e32 v7, 0
	s_wait_dscnt 0x0
	s_barrier_signal -1
	s_barrier_wait -1
	s_and_saveexec_b32 s1, s0
; %bb.22:
	ds_load_b32 v7, v8
; %bb.23:
	s_or_b32 exec_lo, exec_lo, s1
	s_wait_dscnt 0x0
	ds_bpermute_b32 v2, v2, v7
	s_and_not1_b32 vcc_lo, exec_lo, s3
	s_lshl_b64 s[0:1], s[22:23], 9
	s_wait_dscnt 0x0
	v_add_f32_e32 v2, v7, v2
	ds_bpermute_b32 v3, v3, v2
	s_wait_dscnt 0x0
	v_add_f32_e32 v2, v2, v3
	ds_bpermute_b32 v3, v4, v2
	;; [unrolled: 3-line block ×4, first 2 shown]
	s_wait_dscnt 0x0
	v_add_f32_e32 v2, v2, v3
	s_cbranch_vccnz .LBB7_25
; %bb.24:
	s_load_b32 s2, s[16:17], s2 offset:0x0 scale_offset
	s_wait_kmcnt 0x0
	v_sub_f32_e32 v3, s2, v9
	s_delay_alu instid0(VALU_DEP_1) | instskip(NEXT) | instid1(VALU_DEP_1)
	v_mul_f32_e32 v4, 0x3fb8aa3b, v3
	v_fma_f32 v5, 0x3fb8aa3b, v3, -v4
	v_rndne_f32_e32 v6, v4
	s_delay_alu instid0(VALU_DEP_1) | instskip(SKIP_1) | instid1(VALU_DEP_4)
	v_sub_f32_e32 v4, v4, v6
	v_cmp_ngt_f32_e32 vcc_lo, 0xc2ce8ed0, v3
	v_fmamk_f32 v5, v3, 0x32a5705f, v5
	s_delay_alu instid0(VALU_DEP_1) | instskip(SKIP_1) | instid1(VALU_DEP_2)
	v_add_f32_e32 v4, v4, v5
	v_cvt_i32_f32_e32 v5, v6
	v_exp_f32_e32 v4, v4
	v_nop
	s_delay_alu instid0(TRANS32_DEP_1) | instskip(NEXT) | instid1(VALU_DEP_1)
	v_ldexp_f32 v4, v4, v5
	v_cndmask_b32_e32 v4, 0, v4, vcc_lo
	v_cmp_nlt_f32_e32 vcc_lo, 0x42b17218, v3
	s_delay_alu instid0(VALU_DEP_2) | instskip(NEXT) | instid1(VALU_DEP_1)
	v_cndmask_b32_e32 v3, 0x7f800000, v4, vcc_lo
	v_add_f32_e32 v2, v2, v3
.LBB7_25:
	s_delay_alu instid0(VALU_DEP_1) | instskip(SKIP_4) | instid1(SALU_CYCLE_1)
	v_div_scale_f32 v3, null, v2, v2, 1.0
	v_div_scale_f32 v6, vcc_lo, 1.0, v2, 1.0
	ds_load_b32 v1, v1 offset:128
	v_rcp_f32_e32 v4, v3
	s_lshl_b64 s[0:1], s[0:1], 2
	s_add_nc_u64 s[0:1], s[18:19], s[0:1]
	v_nop
	s_delay_alu instid0(TRANS32_DEP_1) | instskip(NEXT) | instid1(VALU_DEP_1)
	v_fma_f32 v5, -v3, v4, 1.0
	v_fmac_f32_e32 v4, v5, v4
	s_delay_alu instid0(VALU_DEP_1) | instskip(NEXT) | instid1(VALU_DEP_1)
	v_mul_f32_e32 v5, v6, v4
	v_fma_f32 v7, -v3, v5, v6
	s_delay_alu instid0(VALU_DEP_1) | instskip(NEXT) | instid1(VALU_DEP_1)
	v_fmac_f32_e32 v5, v7, v4
	v_fma_f32 v3, -v3, v5, v6
	s_delay_alu instid0(VALU_DEP_1) | instskip(NEXT) | instid1(VALU_DEP_1)
	v_div_fmas_f32 v3, v3, v4, v5
	v_div_fixup_f32 v2, v3, v2, 1.0
	s_wait_dscnt 0x0
	s_delay_alu instid0(VALU_DEP_1)
	v_mul_f32_e32 v1, v2, v1
	global_store_b32 v0, v1, s[0:1] scale_offset
	s_endpgm
	.section	.rodata,"a",@progbits
	.p2align	6, 0x0
	.amdhsa_kernel _ZL12soft_max_f32ILb1ELi512ELi512E6__halfEvPKfPKT2_S2_Pf15soft_max_params
		.amdhsa_group_segment_fixed_size 0
		.amdhsa_private_segment_fixed_size 0
		.amdhsa_kernarg_size 416
		.amdhsa_user_sgpr_count 2
		.amdhsa_user_sgpr_dispatch_ptr 0
		.amdhsa_user_sgpr_queue_ptr 0
		.amdhsa_user_sgpr_kernarg_segment_ptr 1
		.amdhsa_user_sgpr_dispatch_id 0
		.amdhsa_user_sgpr_kernarg_preload_length 0
		.amdhsa_user_sgpr_kernarg_preload_offset 0
		.amdhsa_user_sgpr_private_segment_size 0
		.amdhsa_wavefront_size32 1
		.amdhsa_uses_dynamic_stack 0
		.amdhsa_enable_private_segment 0
		.amdhsa_system_sgpr_workgroup_id_x 1
		.amdhsa_system_sgpr_workgroup_id_y 1
		.amdhsa_system_sgpr_workgroup_id_z 1
		.amdhsa_system_sgpr_workgroup_info 0
		.amdhsa_system_vgpr_workitem_id 0
		.amdhsa_next_free_vgpr 18
		.amdhsa_next_free_sgpr 36
		.amdhsa_named_barrier_count 0
		.amdhsa_reserve_vcc 1
		.amdhsa_float_round_mode_32 0
		.amdhsa_float_round_mode_16_64 0
		.amdhsa_float_denorm_mode_32 3
		.amdhsa_float_denorm_mode_16_64 3
		.amdhsa_fp16_overflow 0
		.amdhsa_memory_ordered 1
		.amdhsa_forward_progress 1
		.amdhsa_inst_pref_size 35
		.amdhsa_round_robin_scheduling 0
		.amdhsa_exception_fp_ieee_invalid_op 0
		.amdhsa_exception_fp_denorm_src 0
		.amdhsa_exception_fp_ieee_div_zero 0
		.amdhsa_exception_fp_ieee_overflow 0
		.amdhsa_exception_fp_ieee_underflow 0
		.amdhsa_exception_fp_ieee_inexact 0
		.amdhsa_exception_int_div_zero 0
	.end_amdhsa_kernel
	.section	.text._ZL12soft_max_f32ILb1ELi512ELi512E6__halfEvPKfPKT2_S2_Pf15soft_max_params,"axG",@progbits,_ZL12soft_max_f32ILb1ELi512ELi512E6__halfEvPKfPKT2_S2_Pf15soft_max_params,comdat
.Lfunc_end7:
	.size	_ZL12soft_max_f32ILb1ELi512ELi512E6__halfEvPKfPKT2_S2_Pf15soft_max_params, .Lfunc_end7-_ZL12soft_max_f32ILb1ELi512ELi512E6__halfEvPKfPKT2_S2_Pf15soft_max_params
                                        ; -- End function
	.set _ZL12soft_max_f32ILb1ELi512ELi512E6__halfEvPKfPKT2_S2_Pf15soft_max_params.num_vgpr, 18
	.set _ZL12soft_max_f32ILb1ELi512ELi512E6__halfEvPKfPKT2_S2_Pf15soft_max_params.num_agpr, 0
	.set _ZL12soft_max_f32ILb1ELi512ELi512E6__halfEvPKfPKT2_S2_Pf15soft_max_params.numbered_sgpr, 36
	.set _ZL12soft_max_f32ILb1ELi512ELi512E6__halfEvPKfPKT2_S2_Pf15soft_max_params.num_named_barrier, 0
	.set _ZL12soft_max_f32ILb1ELi512ELi512E6__halfEvPKfPKT2_S2_Pf15soft_max_params.private_seg_size, 0
	.set _ZL12soft_max_f32ILb1ELi512ELi512E6__halfEvPKfPKT2_S2_Pf15soft_max_params.uses_vcc, 1
	.set _ZL12soft_max_f32ILb1ELi512ELi512E6__halfEvPKfPKT2_S2_Pf15soft_max_params.uses_flat_scratch, 0
	.set _ZL12soft_max_f32ILb1ELi512ELi512E6__halfEvPKfPKT2_S2_Pf15soft_max_params.has_dyn_sized_stack, 0
	.set _ZL12soft_max_f32ILb1ELi512ELi512E6__halfEvPKfPKT2_S2_Pf15soft_max_params.has_recursion, 0
	.set _ZL12soft_max_f32ILb1ELi512ELi512E6__halfEvPKfPKT2_S2_Pf15soft_max_params.has_indirect_call, 0
	.section	.AMDGPU.csdata,"",@progbits
; Kernel info:
; codeLenInByte = 4384
; TotalNumSgprs: 38
; NumVgprs: 18
; ScratchSize: 0
; MemoryBound: 0
; FloatMode: 240
; IeeeMode: 1
; LDSByteSize: 0 bytes/workgroup (compile time only)
; SGPRBlocks: 0
; VGPRBlocks: 1
; NumSGPRsForWavesPerEU: 38
; NumVGPRsForWavesPerEU: 18
; NamedBarCnt: 0
; Occupancy: 16
; WaveLimiterHint : 1
; COMPUTE_PGM_RSRC2:SCRATCH_EN: 0
; COMPUTE_PGM_RSRC2:USER_SGPR: 2
; COMPUTE_PGM_RSRC2:TRAP_HANDLER: 0
; COMPUTE_PGM_RSRC2:TGID_X_EN: 1
; COMPUTE_PGM_RSRC2:TGID_Y_EN: 1
; COMPUTE_PGM_RSRC2:TGID_Z_EN: 1
; COMPUTE_PGM_RSRC2:TIDIG_COMP_CNT: 0
	.section	.text._ZL12soft_max_f32ILb1ELi256ELi256E6__halfEvPKfPKT2_S2_Pf15soft_max_params,"axG",@progbits,_ZL12soft_max_f32ILb1ELi256ELi256E6__halfEvPKfPKT2_S2_Pf15soft_max_params,comdat
	.globl	_ZL12soft_max_f32ILb1ELi256ELi256E6__halfEvPKfPKT2_S2_Pf15soft_max_params ; -- Begin function _ZL12soft_max_f32ILb1ELi256ELi256E6__halfEvPKfPKT2_S2_Pf15soft_max_params
	.p2align	8
	.type	_ZL12soft_max_f32ILb1ELi256ELi256E6__halfEvPKfPKT2_S2_Pf15soft_max_params,@function
_ZL12soft_max_f32ILb1ELi256ELi256E6__halfEvPKfPKT2_S2_Pf15soft_max_params: ; @_ZL12soft_max_f32ILb1ELi256ELi256E6__halfEvPKfPKT2_S2_Pf15soft_max_params
; %bb.0:
	s_clause 0x1
	s_load_b256 s[4:11], s[0:1], 0x68
	s_load_b64 s[12:13], s[0:1], 0x88
	s_bfe_u32 s2, ttmp6, 0x40010
	s_and_b32 s3, ttmp7, 0xffff
	s_add_co_i32 s2, s2, 1
	s_bfe_u32 s14, ttmp6, 0x40004
	s_mul_i32 s2, s3, s2
	s_getreg_b32 s28, hwreg(HW_REG_IB_STS2, 6, 4)
	s_add_co_i32 s14, s14, s2
	s_cmp_eq_u32 s28, 0
	s_cselect_b32 s2, s3, s14
	s_mov_b32 s3, 0
	s_wait_kmcnt 0x0
	s_and_b64 s[14:15], s[10:11], 0xffffffff00000000
	s_delay_alu instid0(SALU_CYCLE_1)
	s_cmp_lg_u64 s[14:15], 0
	s_cbranch_scc0 .LBB8_10
; %bb.1:
	s_ashr_i32 s14, s11, 31
	s_mov_b32 s21, s3
	s_mov_b32 s15, s14
	;; [unrolled: 1-line block ×3, first 2 shown]
	s_add_nc_u64 s[16:17], s[10:11], s[14:15]
	s_delay_alu instid0(SALU_CYCLE_1) | instskip(NEXT) | instid1(SALU_CYCLE_1)
	s_xor_b64 s[14:15], s[16:17], s[14:15]
	s_cvt_f32_u32 s11, s14
	s_cvt_f32_u32 s16, s15
	s_sub_nc_u64 s[18:19], 0, s[14:15]
	s_delay_alu instid0(SALU_CYCLE_2) | instskip(NEXT) | instid1(SALU_CYCLE_3)
	s_fmamk_f32 s11, s16, 0x4f800000, s11
	v_s_rcp_f32 s11, s11
	s_delay_alu instid0(TRANS32_DEP_1) | instskip(NEXT) | instid1(SALU_CYCLE_3)
	s_mul_f32 s11, s11, 0x5f7ffffc
	s_mul_f32 s16, s11, 0x2f800000
	s_delay_alu instid0(SALU_CYCLE_3) | instskip(NEXT) | instid1(SALU_CYCLE_3)
	s_trunc_f32 s16, s16
	s_fmamk_f32 s11, s16, 0xcf800000, s11
	s_cvt_u32_f32 s17, s16
	s_delay_alu instid0(SALU_CYCLE_2) | instskip(NEXT) | instid1(SALU_CYCLE_3)
	s_cvt_u32_f32 s16, s11
	s_mul_u64 s[22:23], s[18:19], s[16:17]
	s_delay_alu instid0(SALU_CYCLE_1)
	s_mul_hi_u32 s27, s16, s23
	s_mul_i32 s26, s16, s23
	s_mul_hi_u32 s20, s16, s22
	s_mul_i32 s24, s17, s22
	s_add_nc_u64 s[20:21], s[20:21], s[26:27]
	s_mul_hi_u32 s11, s17, s22
	s_mul_hi_u32 s29, s17, s23
	s_add_co_u32 s20, s20, s24
	s_add_co_ci_u32 s24, s21, s11
	s_mul_i32 s22, s17, s23
	s_add_co_ci_u32 s23, s29, 0
	s_delay_alu instid0(SALU_CYCLE_1) | instskip(SKIP_3) | instid1(SALU_CYCLE_1)
	s_add_nc_u64 s[20:21], s[24:25], s[22:23]
	s_mov_b32 s23, s3
	s_add_co_u32 s16, s16, s20
	s_cselect_b32 s11, -1, 0
	s_cmp_lg_u32 s11, 0
	s_add_co_ci_u32 s17, s17, s21
	s_mov_b32 s21, s3
	s_mul_u64 s[18:19], s[18:19], s[16:17]
	s_delay_alu instid0(SALU_CYCLE_1)
	s_mul_hi_u32 s25, s16, s19
	s_mul_i32 s24, s16, s19
	s_mul_hi_u32 s20, s16, s18
	s_mul_i32 s22, s17, s18
	s_add_nc_u64 s[20:21], s[20:21], s[24:25]
	s_mul_hi_u32 s11, s17, s18
	s_mul_hi_u32 s26, s17, s19
	s_mul_i32 s18, s17, s19
	s_add_co_u32 s19, s20, s22
	s_add_co_ci_u32 s22, s21, s11
	s_add_co_ci_u32 s19, s26, 0
	s_add_nc_u64 s[20:21], s[2:3], 0
	s_add_nc_u64 s[18:19], s[22:23], s[18:19]
	s_delay_alu instid0(SALU_CYCLE_1) | instskip(SKIP_1) | instid1(SALU_CYCLE_1)
	s_add_co_u32 s11, s16, s18
	s_cselect_b32 s16, -1, 0
	s_cmp_lg_u32 s16, 0
	s_add_co_ci_u32 s18, s17, s19
	s_xor_b64 s[16:17], s[20:21], 0
	s_mov_b32 s19, s3
	s_mul_hi_u32 s21, s16, s18
	s_mul_i32 s20, s16, s18
	s_mul_hi_u32 s22, s16, s11
	s_mul_hi_u32 s25, s17, s11
	s_mul_i32 s11, s17, s11
	s_add_nc_u64 s[20:21], s[22:23], s[20:21]
	s_mul_hi_u32 s24, s17, s18
	s_add_co_u32 s11, s20, s11
	s_mul_i32 s22, s17, s18
	s_add_co_ci_u32 s18, s21, s25
	s_add_co_ci_u32 s23, s24, 0
	s_delay_alu instid0(SALU_CYCLE_1) | instskip(NEXT) | instid1(SALU_CYCLE_1)
	s_add_nc_u64 s[18:19], s[18:19], s[22:23]
	s_and_b64 s[20:21], s[18:19], 0xffffffff00000000
	s_delay_alu instid0(SALU_CYCLE_1) | instskip(NEXT) | instid1(SALU_CYCLE_1)
	s_or_b32 s20, s20, s18
	s_mul_u64 s[18:19], s[14:15], s[20:21]
	s_delay_alu instid0(SALU_CYCLE_1)
	s_sub_co_u32 s11, s16, s18
	s_cselect_b32 s16, -1, 0
	s_sub_co_i32 s18, s17, s19
	s_cmp_lg_u32 s16, 0
	s_sub_co_ci_u32 s18, s18, s15
	s_sub_co_u32 s20, s11, s14
	s_cselect_b32 s21, -1, 0
	s_delay_alu instid0(SALU_CYCLE_1) | instskip(SKIP_1) | instid1(SALU_CYCLE_1)
	s_cmp_lg_u32 s21, 0
	s_sub_co_ci_u32 s22, s18, 0
	s_cmp_ge_u32 s22, s15
	s_cselect_b32 s23, -1, 0
	s_cmp_ge_u32 s20, s14
	s_cselect_b32 s24, -1, 0
	s_cmp_eq_u32 s22, s15
	s_cselect_b32 s23, s24, s23
	s_cmp_lg_u32 s21, 0
	s_sub_co_ci_u32 s18, s18, s15
	s_sub_co_u32 s21, s20, s14
	s_cselect_b32 s24, -1, 0
	s_delay_alu instid0(SALU_CYCLE_1)
	s_cmp_lg_u32 s24, 0
	s_sub_co_ci_u32 s18, s18, 0
	s_cmp_lg_u32 s23, 0
	s_cselect_b32 s20, s21, s20
	s_cselect_b32 s18, s18, s22
	s_cmp_lg_u32 s16, 0
	s_sub_co_ci_u32 s16, s17, s19
	s_delay_alu instid0(SALU_CYCLE_1)
	s_cmp_ge_u32 s16, s15
	s_cselect_b32 s17, -1, 0
	s_cmp_ge_u32 s11, s14
	s_cselect_b32 s14, -1, 0
	s_cmp_eq_u32 s16, s15
	s_cselect_b32 s14, s14, s17
	s_delay_alu instid0(SALU_CYCLE_1) | instskip(SKIP_2) | instid1(SALU_CYCLE_1)
	s_cmp_lg_u32 s14, 0
	s_cselect_b32 s15, s18, s16
	s_cselect_b32 s14, s20, s11
	s_xor_b64 s[14:15], s[14:15], 0
	s_delay_alu instid0(SALU_CYCLE_1)
	s_sub_nc_u64 s[20:21], s[14:15], 0
	s_and_not1_b32 vcc_lo, exec_lo, s3
	s_cbranch_vccnz .LBB8_3
.LBB8_2:
	v_cvt_f32_u32_e32 v1, s10
	s_sub_co_i32 s11, 0, s10
	s_mov_b32 s21, 0
	s_delay_alu instid0(VALU_DEP_1) | instskip(SKIP_1) | instid1(TRANS32_DEP_1)
	v_rcp_iflag_f32_e32 v1, v1
	v_nop
	v_mul_f32_e32 v1, 0x4f7ffffe, v1
	s_delay_alu instid0(VALU_DEP_1) | instskip(NEXT) | instid1(VALU_DEP_1)
	v_cvt_u32_f32_e32 v1, v1
	v_readfirstlane_b32 s3, v1
	s_mul_i32 s11, s11, s3
	s_delay_alu instid0(SALU_CYCLE_1) | instskip(NEXT) | instid1(SALU_CYCLE_1)
	s_mul_hi_u32 s11, s3, s11
	s_add_co_i32 s3, s3, s11
	s_delay_alu instid0(SALU_CYCLE_1) | instskip(NEXT) | instid1(SALU_CYCLE_1)
	s_mul_hi_u32 s3, s2, s3
	s_mul_i32 s3, s3, s10
	s_delay_alu instid0(SALU_CYCLE_1) | instskip(NEXT) | instid1(SALU_CYCLE_1)
	s_sub_co_i32 s3, s2, s3
	s_sub_co_i32 s11, s3, s10
	s_cmp_ge_u32 s3, s10
	s_cselect_b32 s3, s11, s3
	s_delay_alu instid0(SALU_CYCLE_1)
	s_sub_co_i32 s11, s3, s10
	s_cmp_ge_u32 s3, s10
	s_cselect_b32 s20, s11, s3
.LBB8_3:
	s_load_b64 s[10:11], s[0:1], 0x90
	s_bfe_u32 s3, ttmp6, 0x40014
	s_lshr_b32 s14, ttmp7, 16
	s_add_co_i32 s3, s3, 1
	s_bfe_u32 s15, ttmp6, 0x40008
	s_mul_i32 s3, s14, s3
	s_mov_b32 s23, 0
	s_add_co_i32 s15, s15, s3
	s_cmp_eq_u32 s28, 0
	s_cselect_b32 s22, s14, s15
	s_and_b64 s[14:15], s[12:13], 0xffffffff00000000
	s_delay_alu instid0(SALU_CYCLE_1)
	s_cmp_lg_u64 s[14:15], 0
	s_cbranch_scc0 .LBB8_11
; %bb.4:
	s_ashr_i32 s14, s13, 31
	s_mov_b32 s25, s23
	s_mov_b32 s15, s14
	;; [unrolled: 1-line block ×3, first 2 shown]
	s_add_nc_u64 s[16:17], s[12:13], s[14:15]
	s_delay_alu instid0(SALU_CYCLE_1) | instskip(NEXT) | instid1(SALU_CYCLE_1)
	s_xor_b64 s[14:15], s[16:17], s[14:15]
	s_cvt_f32_u32 s3, s14
	s_cvt_f32_u32 s13, s15
	s_sub_nc_u64 s[18:19], 0, s[14:15]
	s_delay_alu instid0(SALU_CYCLE_2) | instskip(NEXT) | instid1(SALU_CYCLE_3)
	s_fmamk_f32 s3, s13, 0x4f800000, s3
	v_s_rcp_f32 s3, s3
	s_delay_alu instid0(TRANS32_DEP_1) | instskip(NEXT) | instid1(SALU_CYCLE_3)
	s_mul_f32 s3, s3, 0x5f7ffffc
	s_mul_f32 s13, s3, 0x2f800000
	s_delay_alu instid0(SALU_CYCLE_3) | instskip(NEXT) | instid1(SALU_CYCLE_3)
	s_trunc_f32 s13, s13
	s_fmamk_f32 s3, s13, 0xcf800000, s3
	s_cvt_u32_f32 s17, s13
	s_delay_alu instid0(SALU_CYCLE_2) | instskip(NEXT) | instid1(SALU_CYCLE_3)
	s_cvt_u32_f32 s16, s3
	s_mul_u64 s[26:27], s[18:19], s[16:17]
	s_delay_alu instid0(SALU_CYCLE_1)
	s_mul_hi_u32 s35, s16, s27
	s_mul_i32 s34, s16, s27
	s_mul_hi_u32 s24, s16, s26
	s_mul_i32 s13, s17, s26
	s_add_nc_u64 s[24:25], s[24:25], s[34:35]
	s_mul_hi_u32 s3, s17, s26
	s_mul_hi_u32 s29, s17, s27
	s_add_co_u32 s13, s24, s13
	s_add_co_ci_u32 s30, s25, s3
	s_mul_i32 s26, s17, s27
	s_add_co_ci_u32 s27, s29, 0
	s_delay_alu instid0(SALU_CYCLE_1) | instskip(SKIP_3) | instid1(SALU_CYCLE_1)
	s_add_nc_u64 s[24:25], s[30:31], s[26:27]
	s_mov_b32 s27, s23
	s_add_co_u32 s16, s16, s24
	s_cselect_b32 s3, -1, 0
	s_cmp_lg_u32 s3, 0
	s_add_co_ci_u32 s17, s17, s25
	s_mov_b32 s25, s23
	s_mul_u64 s[18:19], s[18:19], s[16:17]
	s_delay_alu instid0(SALU_CYCLE_1)
	s_mul_hi_u32 s31, s16, s19
	s_mul_i32 s30, s16, s19
	s_mul_hi_u32 s24, s16, s18
	s_mul_i32 s13, s17, s18
	s_add_nc_u64 s[24:25], s[24:25], s[30:31]
	s_mul_hi_u32 s3, s17, s18
	s_mul_hi_u32 s29, s17, s19
	s_add_co_u32 s13, s24, s13
	s_add_co_ci_u32 s26, s25, s3
	s_mul_i32 s18, s17, s19
	s_add_co_ci_u32 s19, s29, 0
	s_add_nc_u64 s[24:25], s[22:23], 0
	s_add_nc_u64 s[18:19], s[26:27], s[18:19]
	s_delay_alu instid0(SALU_CYCLE_1) | instskip(SKIP_1) | instid1(SALU_CYCLE_1)
	s_add_co_u32 s3, s16, s18
	s_cselect_b32 s13, -1, 0
	s_cmp_lg_u32 s13, 0
	s_add_co_ci_u32 s13, s17, s19
	s_xor_b64 s[16:17], s[24:25], 0
	s_mov_b32 s19, s23
	s_mul_hi_u32 s25, s16, s13
	s_mul_i32 s24, s16, s13
	s_mul_hi_u32 s26, s16, s3
	s_mul_hi_u32 s18, s17, s3
	s_mul_i32 s3, s17, s3
	s_add_nc_u64 s[24:25], s[26:27], s[24:25]
	s_mul_hi_u32 s29, s17, s13
	s_add_co_u32 s3, s24, s3
	s_add_co_ci_u32 s18, s25, s18
	s_mul_i32 s26, s17, s13
	s_add_co_ci_u32 s27, s29, 0
	s_delay_alu instid0(SALU_CYCLE_1) | instskip(NEXT) | instid1(SALU_CYCLE_1)
	s_add_nc_u64 s[18:19], s[18:19], s[26:27]
	s_and_b64 s[24:25], s[18:19], 0xffffffff00000000
	s_delay_alu instid0(SALU_CYCLE_1) | instskip(NEXT) | instid1(SALU_CYCLE_1)
	s_or_b32 s24, s24, s18
	s_mul_u64 s[18:19], s[14:15], s[24:25]
	s_delay_alu instid0(SALU_CYCLE_1)
	s_sub_co_u32 s3, s16, s18
	s_cselect_b32 s13, -1, 0
	s_sub_co_i32 s16, s17, s19
	s_cmp_lg_u32 s13, 0
	s_sub_co_ci_u32 s16, s16, s15
	s_sub_co_u32 s18, s3, s14
	s_cselect_b32 s24, -1, 0
	s_delay_alu instid0(SALU_CYCLE_1) | instskip(SKIP_1) | instid1(SALU_CYCLE_1)
	s_cmp_lg_u32 s24, 0
	s_sub_co_ci_u32 s25, s16, 0
	s_cmp_ge_u32 s25, s15
	s_cselect_b32 s26, -1, 0
	s_cmp_ge_u32 s18, s14
	s_cselect_b32 s27, -1, 0
	s_cmp_eq_u32 s25, s15
	s_cselect_b32 s26, s27, s26
	s_cmp_lg_u32 s24, 0
	s_sub_co_ci_u32 s16, s16, s15
	s_sub_co_u32 s24, s18, s14
	s_cselect_b32 s27, -1, 0
	s_delay_alu instid0(SALU_CYCLE_1)
	s_cmp_lg_u32 s27, 0
	s_sub_co_ci_u32 s16, s16, 0
	s_cmp_lg_u32 s26, 0
	s_cselect_b32 s18, s24, s18
	s_cselect_b32 s16, s16, s25
	s_cmp_lg_u32 s13, 0
	s_sub_co_ci_u32 s13, s17, s19
	s_delay_alu instid0(SALU_CYCLE_1)
	s_cmp_ge_u32 s13, s15
	s_cselect_b32 s17, -1, 0
	s_cmp_ge_u32 s3, s14
	s_cselect_b32 s14, -1, 0
	s_cmp_eq_u32 s13, s15
	s_cselect_b32 s14, s14, s17
	s_delay_alu instid0(SALU_CYCLE_1) | instskip(SKIP_2) | instid1(SALU_CYCLE_1)
	s_cmp_lg_u32 s14, 0
	s_cselect_b32 s15, s16, s13
	s_cselect_b32 s14, s18, s3
	s_xor_b64 s[14:15], s[14:15], 0
	s_delay_alu instid0(SALU_CYCLE_1)
	s_sub_nc_u64 s[24:25], s[14:15], 0
	s_and_not1_b32 vcc_lo, exec_lo, s23
	s_cbranch_vccnz .LBB8_6
.LBB8_5:
	v_cvt_f32_u32_e32 v1, s12
	s_sub_co_i32 s13, 0, s12
	s_mov_b32 s25, 0
	s_delay_alu instid0(VALU_DEP_1) | instskip(SKIP_1) | instid1(TRANS32_DEP_1)
	v_rcp_iflag_f32_e32 v1, v1
	v_nop
	v_mul_f32_e32 v1, 0x4f7ffffe, v1
	s_delay_alu instid0(VALU_DEP_1) | instskip(NEXT) | instid1(VALU_DEP_1)
	v_cvt_u32_f32_e32 v1, v1
	v_readfirstlane_b32 s3, v1
	s_mul_i32 s13, s13, s3
	s_delay_alu instid0(SALU_CYCLE_1) | instskip(NEXT) | instid1(SALU_CYCLE_1)
	s_mul_hi_u32 s13, s3, s13
	s_add_co_i32 s3, s3, s13
	s_delay_alu instid0(SALU_CYCLE_1) | instskip(NEXT) | instid1(SALU_CYCLE_1)
	s_mul_hi_u32 s3, s22, s3
	s_mul_i32 s3, s3, s12
	s_delay_alu instid0(SALU_CYCLE_1) | instskip(NEXT) | instid1(SALU_CYCLE_1)
	s_sub_co_i32 s3, s22, s3
	s_sub_co_i32 s13, s3, s12
	s_cmp_ge_u32 s3, s12
	s_cselect_b32 s3, s13, s3
	s_delay_alu instid0(SALU_CYCLE_1)
	s_sub_co_i32 s13, s3, s12
	s_cmp_ge_u32 s3, s12
	s_cselect_b32 s24, s13, s3
.LBB8_6:
	s_load_b64 s[26:27], s[0:1], 0xa0
	v_mov_b32_e32 v1, 1.0
	s_wait_kmcnt 0x0
	s_cmp_le_f32 s11, 0
	s_cbranch_scc1 .LBB8_8
; %bb.7:
	s_clause 0x1
	s_load_b32 s3, s[0:1], 0x28
	s_load_b64 s[12:13], s[0:1], 0x98
	s_add_co_i32 s14, s2, 1
	s_wait_kmcnt 0x0
	s_sub_co_i32 s11, s2, s3
	s_delay_alu instid0(SALU_CYCLE_1) | instskip(NEXT) | instid1(SALU_CYCLE_1)
	s_lshl_b32 s11, s11, 1
	s_or_b32 s11, s11, 1
	s_cmp_lt_u32 s2, s3
	s_cselect_b32 s3, s14, s11
	s_cselect_b32 s12, s12, s13
	s_cvt_f32_i32 s3, s3
	s_cmp_neq_f32 s12, 1.0
	s_delay_alu instid0(SALU_CYCLE_2) | instskip(NEXT) | instid1(SALU_CYCLE_1)
	s_cselect_b32 s11, s3, 1.0
	s_cmp_neq_f32 s11, 0
	s_cselect_b32 s3, s12, 1.0
	s_delay_alu instid0(SALU_CYCLE_1) | instskip(NEXT) | instid1(VALU_DEP_1)
	v_cvt_f64_f32_e64 v[2:3], |s3|
	v_frexp_exp_i32_f64_e32 v1, v[2:3]
	v_frexp_mant_f32_e64 v2, |s3|
	s_delay_alu instid0(VALU_DEP_1) | instskip(SKIP_2) | instid1(SALU_CYCLE_1)
	v_readfirstlane_b32 s12, v2
	s_cmp_lt_f32 s12, 0x3f2aaaab
	s_cselect_b32 vcc_lo, -1, 0
	s_and_b32 s13, vcc_lo, exec_lo
	s_cselect_b32 s13, 2.0, 1.0
	s_delay_alu instid0(SALU_CYCLE_1) | instskip(NEXT) | instid1(SALU_CYCLE_3)
	s_mul_f32 s12, s12, s13
	s_add_f32 s13, s12, 1.0
	s_add_f32 s15, s12, -1.0
	s_delay_alu instid0(SALU_CYCLE_2) | instskip(SKIP_2) | instid1(SALU_CYCLE_2)
	v_s_rcp_f32 s14, s13
	s_add_f32 s18, s13, -1.0
	v_subrev_co_ci_u32_e64 v1, null, 0, v1, vcc_lo
	s_sub_f32 s12, s12, s18
	s_delay_alu instid0(TRANS32_DEP_1) | instskip(SKIP_1) | instid1(SALU_CYCLE_2)
	s_mul_f32 s16, s15, s14
	v_cvt_f32_i32_e32 v1, v1
	s_mul_f32 s17, s13, s16
	s_delay_alu instid0(SALU_CYCLE_3) | instskip(SKIP_1) | instid1(SALU_CYCLE_1)
	v_dual_mov_b32 v3, s15 :: v_dual_mov_b32 v4, s17
	s_xor_b32 s19, s17, 0x80000000
	s_fmac_f32 s19, s16, s13
	s_delay_alu instid0(SALU_CYCLE_3) | instskip(NEXT) | instid1(SALU_CYCLE_3)
	s_fmac_f32 s19, s16, s12
	s_add_f32 s12, s17, s19
	v_mov_b32_e32 v6, s19
	s_mov_b32 s17, 0x3e76c4e1
	s_delay_alu instid0(SALU_CYCLE_1) | instskip(SKIP_1) | instid1(SALU_CYCLE_2)
	s_sub_f32 s13, s15, s12
	v_dual_mov_b32 v2, s12 :: v_dual_mov_b32 v7, s12
	v_mov_b32_e32 v5, s13
	s_delay_alu instid0(VALU_DEP_1) | instskip(NEXT) | instid1(VALU_DEP_1)
	v_pk_add_f32 v[2:3], v[2:3], v[4:5] neg_lo:[0,1] neg_hi:[0,1]
	v_pk_add_f32 v[2:3], v[2:3], v[6:7] neg_lo:[0,1] neg_hi:[0,1]
	s_delay_alu instid0(VALU_DEP_1) | instskip(NEXT) | instid1(VALU_DEP_2)
	v_readfirstlane_b32 s12, v3
	v_readfirstlane_b32 s15, v2
	s_add_f32 s12, s15, s12
	s_delay_alu instid0(SALU_CYCLE_3) | instskip(NEXT) | instid1(SALU_CYCLE_3)
	s_add_f32 s12, s13, s12
	s_mul_f32 s13, s14, s12
	s_delay_alu instid0(SALU_CYCLE_3) | instskip(NEXT) | instid1(SALU_CYCLE_3)
	s_add_f32 s12, s16, s13
	s_sub_f32 s14, s12, s16
	s_mul_f32 s15, s12, s12
	s_delay_alu instid0(SALU_CYCLE_2) | instskip(NEXT) | instid1(SALU_CYCLE_2)
	s_sub_f32 s16, s13, s14
	s_xor_b32 s13, s15, 0x80000000
	s_delay_alu instid0(SALU_CYCLE_1) | instskip(NEXT) | instid1(SALU_CYCLE_1)
	s_fmac_f32 s13, s12, s12
	s_add_f32 s14, s16, s16
	s_delay_alu instid0(SALU_CYCLE_3) | instskip(NEXT) | instid1(SALU_CYCLE_3)
	s_fmac_f32 s13, s12, s14
	s_add_f32 s14, s15, s13
	s_delay_alu instid0(SALU_CYCLE_3) | instskip(SKIP_1) | instid1(SALU_CYCLE_2)
	s_fmaak_f32 s17, s14, s17, 0x3e91f4c4
	s_sub_f32 s15, s14, s15
	s_fmaak_f32 s17, s14, s17, 0x3ecccdef
	s_delay_alu instid0(SALU_CYCLE_2) | instskip(NEXT) | instid1(SALU_CYCLE_2)
	s_sub_f32 s23, s13, s15
	s_mul_f32 s18, s14, s17
	s_delay_alu instid0(SALU_CYCLE_3) | instskip(NEXT) | instid1(SALU_CYCLE_1)
	s_xor_b32 s19, s18, 0x80000000
	s_fmac_f32 s19, s14, s17
	s_delay_alu instid0(SALU_CYCLE_3) | instskip(NEXT) | instid1(SALU_CYCLE_3)
	s_fmac_f32 s19, s23, s17
	s_add_f32 s15, s18, s19
	s_delay_alu instid0(SALU_CYCLE_3) | instskip(SKIP_1) | instid1(SALU_CYCLE_2)
	s_sub_f32 s13, s15, s18
	s_add_f32 s17, s15, 0x3f2aaaaa
	s_sub_f32 s13, s19, s13
	s_delay_alu instid0(SALU_CYCLE_2) | instskip(NEXT) | instid1(SALU_CYCLE_2)
	s_add_f32 s18, s17, 0xbf2aaaaa
	s_add_f32 s13, s13, 0x31739010
	s_delay_alu instid0(SALU_CYCLE_2) | instskip(NEXT) | instid1(SALU_CYCLE_2)
	s_sub_f32 s15, s15, s18
	v_mov_b64_e32 v[2:3], s[12:13]
	s_delay_alu instid0(SALU_CYCLE_2) | instskip(NEXT) | instid1(VALU_DEP_1)
	v_mov_b64_e32 v[4:5], s[14:15]
	v_pk_mul_f32 v[6:7], v[2:3], v[4:5]
	v_pk_add_f32 v[2:3], v[2:3], v[4:5]
	v_mov_b32_e32 v9, s17
	s_delay_alu instid0(VALU_DEP_3) | instskip(NEXT) | instid1(VALU_DEP_3)
	v_xor_b32_e32 v8, 0x80000000, v6
	v_mov_b32_e32 v7, v3
	s_delay_alu instid0(VALU_DEP_2) | instskip(NEXT) | instid1(VALU_DEP_1)
	v_fmac_f32_e64 v8, s14, s12
	v_fmac_f32_e64 v8, s14, s16
	s_delay_alu instid0(VALU_DEP_1) | instskip(NEXT) | instid1(VALU_DEP_1)
	v_fmac_f32_e64 v8, s23, s12
	v_pk_add_f32 v[4:5], v[6:7], v[8:9]
	s_delay_alu instid0(VALU_DEP_1) | instskip(SKIP_1) | instid1(VALU_DEP_2)
	v_dual_mov_b32 v2, v5 :: v_dual_sub_f32 v7, s17, v5
	v_mul_f32_e32 v12, 0x3f317218, v1
	v_pk_mul_f32 v[10:11], v[4:5], v[2:3]
	s_delay_alu instid0(VALU_DEP_3) | instskip(NEXT) | instid1(VALU_DEP_3)
	v_add_f32_e32 v3, v3, v7
	v_xor_b32_e32 v7, 0x80000000, v12
	s_delay_alu instid0(VALU_DEP_3) | instskip(NEXT) | instid1(VALU_DEP_2)
	v_xor_b32_e32 v2, 0x80000000, v10
	v_dual_sub_f32 v6, v4, v6 :: v_dual_fmac_f32 v7, 0x3f317218, v1
	s_delay_alu instid0(VALU_DEP_2) | instskip(NEXT) | instid1(VALU_DEP_2)
	v_fmac_f32_e32 v2, v4, v5
	v_sub_f32_e32 v6, v8, v6
	s_delay_alu instid0(VALU_DEP_2) | instskip(NEXT) | instid1(VALU_DEP_1)
	v_fmac_f32_e32 v2, v4, v3
	v_fmac_f32_e32 v2, v6, v5
	v_fmamk_f32 v4, v1, 0xb102e308, v7
	v_ldexp_f32 v5, s12, 1
	v_ldexp_f32 v1, s16, 1
	s_delay_alu instid0(VALU_DEP_2) | instskip(NEXT) | instid1(VALU_DEP_1)
	v_dual_add_f32 v13, v10, v2 :: v_dual_mov_b32 v11, v5
	v_pk_add_f32 v[6:7], v[12:13], v[4:5]
	v_dual_mov_b32 v8, v13 :: v_dual_mov_b32 v3, v13
	s_delay_alu instid0(VALU_DEP_2) | instskip(SKIP_1) | instid1(VALU_DEP_2)
	v_dual_mov_b32 v9, v7 :: v_dual_mov_b32 v5, v6
	v_mov_b32_e32 v14, v7
	v_pk_add_f32 v[8:9], v[8:9], v[10:11] neg_lo:[0,1] neg_hi:[0,1]
	s_delay_alu instid0(VALU_DEP_1) | instskip(NEXT) | instid1(VALU_DEP_1)
	v_pk_add_f32 v[2:3], v[2:3], v[8:9] neg_lo:[0,1] neg_hi:[0,1]
	v_add_f32_e32 v1, v1, v2
	s_delay_alu instid0(VALU_DEP_1) | instskip(NEXT) | instid1(VALU_DEP_1)
	v_add_f32_e32 v13, v1, v3
	v_pk_add_f32 v[2:3], v[6:7], v[12:13]
	v_pk_add_f32 v[8:9], v[6:7], v[12:13] neg_lo:[0,1] neg_hi:[0,1]
	s_delay_alu instid0(VALU_DEP_2) | instskip(NEXT) | instid1(VALU_DEP_1)
	v_mov_b32_e32 v9, v3
	v_pk_add_f32 v[10:11], v[4:5], v[8:9]
	v_pk_add_f32 v[4:5], v[4:5], v[8:9] neg_lo:[0,1] neg_hi:[0,1]
	v_dual_mov_b32 v16, v3 :: v_dual_mov_b32 v5, v6
	s_delay_alu instid0(VALU_DEP_3) | instskip(NEXT) | instid1(VALU_DEP_3)
	v_dual_mov_b32 v12, v11 :: v_dual_mov_b32 v17, v11
	v_readfirstlane_b32 s12, v4
	s_delay_alu instid0(VALU_DEP_2) | instskip(NEXT) | instid1(VALU_DEP_2)
	v_pk_add_f32 v[8:9], v[12:13], v[6:7] neg_lo:[0,1] neg_hi:[0,1]
	v_dual_mov_b32 v4, v13 :: v_dual_mov_b32 v10, s12
	s_delay_alu instid0(VALU_DEP_2) | instskip(NEXT) | instid1(VALU_DEP_1)
	v_dual_mov_b32 v15, v8 :: v_dual_mov_b32 v1, v8
	v_pk_add_f32 v[6:7], v[16:17], v[14:15] neg_lo:[0,1] neg_hi:[0,1]
	s_delay_alu instid0(VALU_DEP_2) | instskip(SKIP_1) | instid1(VALU_DEP_3)
	v_pk_add_f32 v[2:3], v[2:3], v[0:1] neg_lo:[0,1] neg_hi:[0,1]
	v_mov_b32_e32 v2, s12
	v_pk_add_f32 v[4:5], v[4:5], v[6:7] neg_lo:[0,1] neg_hi:[0,1]
	s_delay_alu instid0(VALU_DEP_1) | instskip(NEXT) | instid1(VALU_DEP_1)
	v_pk_add_f32 v[2:3], v[2:3], v[4:5]
	v_readfirstlane_b32 s13, v2
	s_delay_alu instid0(VALU_DEP_2) | instskip(NEXT) | instid1(VALU_DEP_1)
	v_mov_b32_e32 v6, v3
	v_pk_add_f32 v[6:7], v[2:3], v[6:7]
	s_delay_alu instid0(VALU_DEP_3) | instskip(NEXT) | instid1(VALU_DEP_2)
	v_mov_b32_e32 v2, s13
	v_pk_add_f32 v[8:9], v[12:13], v[6:7]
	v_mov_b32_e32 v5, v6
	s_delay_alu instid0(VALU_DEP_2) | instskip(NEXT) | instid1(VALU_DEP_1)
	v_readfirstlane_b32 s14, v8
	v_mov_b32_e32 v3, s14
	s_delay_alu instid0(VALU_DEP_1) | instskip(NEXT) | instid1(VALU_DEP_1)
	v_pk_add_f32 v[2:3], v[2:3], v[10:11] neg_lo:[0,1] neg_hi:[0,1]
	v_readfirstlane_b32 s15, v2
	s_delay_alu instid0(VALU_DEP_2) | instskip(SKIP_1) | instid1(VALU_DEP_1)
	v_pk_add_f32 v[2:3], v[4:5], v[2:3] neg_lo:[0,1] neg_hi:[0,1]
	s_sub_f32 s13, s13, s15
	v_readfirstlane_b32 s15, v2
	s_delay_alu instid0(SALU_CYCLE_2) | instskip(SKIP_1) | instid1(SALU_CYCLE_2)
	s_sub_f32 s12, s12, s13
	v_readfirstlane_b32 s13, v3
	s_add_f32 s12, s15, s12
	s_delay_alu instid0(SALU_CYCLE_3) | instskip(NEXT) | instid1(SALU_CYCLE_3)
	s_add_f32 s12, s12, s13
	s_add_f32 s13, s14, s12
	s_delay_alu instid0(SALU_CYCLE_3) | instskip(SKIP_1) | instid1(SALU_CYCLE_2)
	s_mul_f32 s15, s11, s13
	s_sub_f32 s14, s13, s14
	s_xor_b32 s16, s15, 0x80000000
	s_delay_alu instid0(SALU_CYCLE_2) | instskip(SKIP_1) | instid1(SALU_CYCLE_3)
	s_sub_f32 s12, s12, s14
	s_fmac_f32 s16, s11, s13
	s_fmac_f32 s16, s11, s12
	v_cmp_class_f32_e64 s12, s15, 0x204
	s_delay_alu instid0(SALU_CYCLE_2) | instskip(SKIP_1) | instid1(SALU_CYCLE_2)
	s_add_f32 s13, s15, s16
	s_and_b32 s12, s12, exec_lo
	s_sub_f32 s12, s13, s15
	s_cselect_b32 s13, s15, s13
	s_delay_alu instid0(SALU_CYCLE_1) | instskip(NEXT) | instid1(SALU_CYCLE_1)
	s_and_b32 s14, s13, 0x7fffffff
	s_sub_f32 s12, s16, s12
	s_cmp_neq_f32 s14, 0x7f800000
	s_delay_alu instid0(SALU_CYCLE_2) | instskip(SKIP_2) | instid1(SALU_CYCLE_1)
	s_cselect_b32 s12, s12, 0
	s_cmp_eq_f32 s13, 0x42b17218
	s_cselect_b32 s14, 0x37000000, 0
	s_sub_f32 s13, s13, s14
	s_add_f32 s12, s14, s12
	s_delay_alu instid0(SALU_CYCLE_2) | instskip(NEXT) | instid1(SALU_CYCLE_3)
	s_mul_f32 s15, s13, 0x3fb8aa3b
	s_xor_b32 s16, s15, 0x80000000
	s_rndne_f32 s17, s15
	s_fmamk_f32 s16, s13, 0x3fb8aa3b, s16
	s_cmp_nlt_f32 s13, 0xc2ce8ed0
	s_delay_alu instid0(SALU_CYCLE_1) | instskip(NEXT) | instid1(SALU_CYCLE_1)
	s_sub_f32 s15, s15, s17
	s_fmamk_f32 s16, s13, 0x32a5705f, s16
	s_cselect_b32 vcc_lo, -1, 0
	s_cmp_ngt_f32 s13, 0x42b17218
	s_trunc_f32 s13, s11
	s_add_f32 s15, s15, s16
	s_cvt_i32_f32 s16, s17
	s_delay_alu instid0(SALU_CYCLE_2)
	v_s_exp_f32 s15, s15
	v_nop
	s_delay_alu instid0(TRANS32_DEP_1) | instid1(SALU_CYCLE_1)
	v_ldexp_f32 v1, s15, s16
	s_mul_f32 s15, s11, 0.5
	s_delay_alu instid0(VALU_DEP_1) | instskip(SKIP_3) | instid1(VALU_DEP_1)
	v_cndmask_b32_e32 v1, 0, v1, vcc_lo
	s_cselect_b32 vcc_lo, -1, 0
	s_cmp_eq_f32 s13, s11
	s_trunc_f32 s16, s15
	v_cndmask_b32_e32 v1, 0x7f800000, v1, vcc_lo
	s_cselect_b32 s17, -1, 0
	s_delay_alu instid0(SALU_CYCLE_1) | instskip(NEXT) | instid1(VALU_DEP_1)
	s_cmp_neq_f32 s16, s15
	v_fma_f32 v2, s12, v1, v1
	v_cmp_class_f32_e64 vcc_lo, v1, 0x204
	s_cselect_b32 s14, -1, 0
	s_delay_alu instid0(SALU_CYCLE_1)
	s_and_b32 s12, s17, s14
	v_cndmask_b32_e32 v1, v2, v1, vcc_lo
	s_and_b32 s14, s12, exec_lo
	s_cselect_b32 s14, s3, 1.0
	s_cmp_eq_f32 s13, s11
	v_cmp_class_f32_e64 s13, s3, 0x204
	v_bfi_b32 v1, 0x7fffffff, v1, s14
	s_cselect_b32 vcc_lo, -1, 0
	s_cmp_lt_f32 s3, 0
	s_delay_alu instid0(VALU_DEP_1) | instskip(SKIP_2) | instid1(VALU_DEP_1)
	v_cndmask_b32_e32 v2, 0x7fc00000, v1, vcc_lo
	s_cselect_b32 vcc_lo, -1, 0
	s_cmp_eq_f32 s3, 0
	v_cndmask_b32_e32 v1, v1, v2, vcc_lo
	s_cselect_b32 s14, -1, 0
	s_delay_alu instid0(SALU_CYCLE_1) | instskip(SKIP_2) | instid1(SALU_CYCLE_1)
	s_or_b32 vcc_lo, s14, s13
	s_cmp_lt_f32 s11, 0
	s_cselect_b32 s11, -1, 0
	s_xor_b32 s11, s11, s14
	s_delay_alu instid0(SALU_CYCLE_1)
	s_and_b32 s11, s11, exec_lo
	s_cselect_b32 s11, 0, 0x7f800000
	s_and_b32 s12, s12, exec_lo
	s_cselect_b32 s12, s3, 0
	s_cmp_o_f32 s3, s3
	v_mov_b32_e32 v2, s12
	s_delay_alu instid0(VALU_DEP_1) | instskip(NEXT) | instid1(VALU_DEP_1)
	v_bfi_b32 v2, 0x7fffffff, s11, v2
	v_cndmask_b32_e32 v1, v1, v2, vcc_lo
	s_cselect_b32 vcc_lo, -1, 0
	s_delay_alu instid0(VALU_DEP_1)
	v_cndmask_b32_e32 v1, 0x7fc00000, v1, vcc_lo
.LBB8_8:
	s_load_b256 s[12:19], s[0:1], 0x0
	s_wait_kmcnt 0x0
	s_cmp_lg_u64 s[16:17], 0
	s_cselect_b32 s3, -1, 0
	s_cmp_eq_u64 s[16:17], 0
	s_cbranch_scc1 .LBB8_12
; %bb.9:
	s_load_b32 s11, s[16:17], s2 offset:0x0 scale_offset
	s_branch .LBB8_13
.LBB8_10:
                                        ; implicit-def: $sgpr20_sgpr21
	s_branch .LBB8_2
.LBB8_11:
                                        ; implicit-def: $sgpr24_sgpr25
	s_branch .LBB8_5
.LBB8_12:
	s_mov_b32 s11, 0xff800000
.LBB8_13:
	s_bfe_u32 s0, ttmp6, 0x4000c
	s_and_b32 s1, ttmp6, 15
	s_add_co_i32 s0, s0, 1
	s_mul_i32 s22, s27, s22
	s_mul_i32 s0, ttmp9, s0
	v_mov_b32_e32 v8, 0
	s_add_co_i32 s1, s1, s0
	s_cmp_eq_u32 s28, 0
	s_cselect_b32 s0, ttmp9, s1
	s_add_co_i32 s1, s22, s2
	s_delay_alu instid0(SALU_CYCLE_1) | instskip(NEXT) | instid1(SALU_CYCLE_1)
	s_mul_i32 s1, s1, s26
	s_add_co_i32 s22, s1, s0
	s_mov_b32 s1, 0
	s_ashr_i32 s23, s22, 31
	s_delay_alu instid0(SALU_CYCLE_1)
	s_lshl_b64 s[26:27], s[22:23], 10
	s_cmp_eq_u64 s[14:15], 0
	s_add_nc_u64 s[12:13], s[12:13], s[26:27]
	global_load_b32 v2, v0, s[12:13] scale_offset
	s_wait_xcnt 0x0
	s_cselect_b32 s12, -1, 0
	s_cmp_lg_u64 s[14:15], 0
	s_cbranch_scc0 .LBB8_15
; %bb.14:
	s_mul_u64 s[0:1], s[4:5], s[0:1]
	s_mul_u64 s[4:5], s[20:21], s[6:7]
	s_mul_u64 s[6:7], s[24:25], s[8:9]
	s_add_nc_u64 s[0:1], s[4:5], s[0:1]
	s_delay_alu instid0(SALU_CYCLE_1) | instskip(NEXT) | instid1(SALU_CYCLE_1)
	s_add_nc_u64 s[0:1], s[0:1], s[6:7]
	s_lshr_b64 s[0:1], s[0:1], 1
	s_and_b32 s4, s12, exec_lo
	s_cselect_b32 s1, 0, s1
	s_cselect_b32 s0, 0, s0
	s_delay_alu instid0(SALU_CYCLE_1) | instskip(NEXT) | instid1(SALU_CYCLE_1)
	s_lshl_b64 s[0:1], s[0:1], 1
	s_add_nc_u64 s[0:1], s[14:15], s[0:1]
	global_load_u16 v3, v0, s[0:1] scale_offset
	s_wait_loadcnt 0x0
	v_cvt_f32_f16_e32 v3, v3
	s_delay_alu instid0(VALU_DEP_1)
	v_mul_f32_e32 v8, v1, v3
.LBB8_15:
	v_mbcnt_lo_u32_b32 v1, -1, 0
	s_wait_loadcnt 0x0
	s_delay_alu instid0(VALU_DEP_2) | instskip(SKIP_3) | instid1(VALU_DEP_2)
	v_fmac_f32_e32 v8, s10, v2
	s_wait_kmcnt 0x0
	v_max_num_f32_e64 v2, s11, s11
	v_xor_b32_e32 v3, 16, v1
	v_dual_max_num_f32 v4, v2, v8 :: v_dual_bitop2_b32 v5, 8, v1 bitop3:0x14
	s_delay_alu instid0(VALU_DEP_2) | instskip(SKIP_1) | instid1(VALU_DEP_3)
	v_cmp_gt_i32_e32 vcc_lo, 32, v3
	v_cndmask_b32_e32 v3, v1, v3, vcc_lo
	v_cmp_gt_i32_e32 vcc_lo, 32, v5
	s_delay_alu instid0(VALU_DEP_2) | instskip(SKIP_3) | instid1(VALU_DEP_1)
	v_lshlrev_b32_e32 v2, 2, v3
	ds_bpermute_b32 v3, v2, v4
	s_wait_dscnt 0x0
	v_dual_cndmask_b32 v5, v1, v5 :: v_dual_max_num_f32 v6, v3, v3
	v_dual_lshlrev_b32 v3, 2, v5 :: v_dual_max_num_f32 v5, v4, v6
	ds_bpermute_b32 v4, v3, v5
	s_wait_dscnt 0x0
	v_dual_max_num_f32 v7, v4, v4 :: v_dual_bitop2_b32 v6, 4, v1 bitop3:0x14
	s_delay_alu instid0(VALU_DEP_1) | instskip(SKIP_1) | instid1(VALU_DEP_1)
	v_cmp_gt_i32_e32 vcc_lo, 32, v6
	v_cndmask_b32_e32 v6, v1, v6, vcc_lo
	v_dual_lshlrev_b32 v4, 2, v6 :: v_dual_max_num_f32 v6, v5, v7
	v_xor_b32_e32 v7, 2, v1
	ds_bpermute_b32 v5, v4, v6
	v_cmp_gt_i32_e32 vcc_lo, 32, v7
	s_wait_dscnt 0x0
	v_max_num_f32_e32 v9, v5, v5
	s_delay_alu instid0(VALU_DEP_1) | instskip(NEXT) | instid1(VALU_DEP_1)
	v_dual_cndmask_b32 v7, v1, v7 :: v_dual_max_num_f32 v6, v6, v9
	v_lshlrev_b32_e32 v5, 2, v7
	ds_bpermute_b32 v7, v5, v6
	s_wait_dscnt 0x0
	v_dual_max_num_f32 v7, v7, v7 :: v_dual_bitop2_b32 v9, 1, v1 bitop3:0x14
	s_delay_alu instid0(VALU_DEP_1) | instskip(NEXT) | instid1(VALU_DEP_2)
	v_cmp_gt_i32_e32 vcc_lo, 32, v9
	v_dual_max_num_f32 v10, v6, v7 :: v_dual_cndmask_b32 v1, v1, v9
	v_dual_lshrrev_b32 v7, 3, v0 :: v_dual_bitop2_b32 v9, 31, v0 bitop3:0x40
	s_delay_alu instid0(VALU_DEP_2) | instskip(SKIP_1) | instid1(VALU_DEP_3)
	v_lshlrev_b32_e32 v6, 2, v1
	v_lshl_add_u32 v1, v0, 2, 0
	v_cmp_eq_u32_e32 vcc_lo, 0, v9
	ds_bpermute_b32 v11, v6, v10
	ds_store_b32 v1, v8 offset:128
	s_and_saveexec_b32 s0, vcc_lo
	s_delay_alu instid0(SALU_CYCLE_1)
	s_xor_b32 s0, exec_lo, s0
	s_cbranch_execz .LBB8_17
; %bb.16:
	s_wait_dscnt 0x1
	v_dual_max_num_f32 v8, v11, v11 :: v_dual_max_num_f32 v10, v10, v10
	s_delay_alu instid0(VALU_DEP_1)
	v_dual_max_num_f32 v8, v10, v8 :: v_dual_add_nc_u32 v10, 0, v7
	ds_store_b32 v10, v8
.LBB8_17:
	s_or_b32 exec_lo, exec_lo, s0
	v_cmp_gt_u32_e64 s0, 8, v9
	v_mov_b32_e32 v10, 0xff800000
	v_lshl_add_u32 v8, v9, 2, 0
	s_wait_dscnt 0x0
	s_barrier_signal -1
	s_barrier_wait -1
	s_and_saveexec_b32 s1, s0
; %bb.18:
	ds_load_b32 v10, v8
; %bb.19:
	s_or_b32 exec_lo, exec_lo, s1
	s_wait_dscnt 0x0
	ds_bpermute_b32 v9, v2, v10
	v_max_num_f32_e32 v10, v10, v10
	ds_load_b32 v11, v1 offset:128
	s_wait_dscnt 0x1
	v_max_num_f32_e32 v9, v9, v9
	s_delay_alu instid0(VALU_DEP_1) | instskip(SKIP_3) | instid1(VALU_DEP_1)
	v_max_num_f32_e32 v9, v10, v9
	ds_bpermute_b32 v10, v3, v9
	s_wait_dscnt 0x0
	v_max_num_f32_e32 v10, v10, v10
	v_max_num_f32_e32 v9, v9, v10
	ds_bpermute_b32 v10, v4, v9
	s_wait_dscnt 0x0
	v_max_num_f32_e32 v10, v10, v10
	s_delay_alu instid0(VALU_DEP_1) | instskip(SKIP_3) | instid1(VALU_DEP_1)
	v_max_num_f32_e32 v9, v9, v10
	ds_bpermute_b32 v10, v5, v9
	s_wait_dscnt 0x0
	v_max_num_f32_e32 v10, v10, v10
	v_max_num_f32_e32 v9, v9, v10
	ds_bpermute_b32 v10, v6, v9
	s_wait_dscnt 0x0
	v_max_num_f32_e32 v10, v10, v10
	s_delay_alu instid0(VALU_DEP_1) | instskip(NEXT) | instid1(VALU_DEP_1)
	v_max_num_f32_e32 v9, v9, v10
	v_sub_f32_e32 v10, v11, v9
	s_delay_alu instid0(VALU_DEP_1) | instskip(NEXT) | instid1(VALU_DEP_1)
	v_mul_f32_e32 v11, 0x3fb8aa3b, v10
	v_fma_f32 v12, 0x3fb8aa3b, v10, -v11
	v_rndne_f32_e32 v13, v11
	s_delay_alu instid0(VALU_DEP_1) | instskip(NEXT) | instid1(VALU_DEP_1)
	v_dual_fmamk_f32 v12, v10, 0x32a5705f, v12 :: v_dual_sub_f32 v11, v11, v13
	v_add_f32_e32 v11, v11, v12
	v_cvt_i32_f32_e32 v12, v13
	v_cmp_ngt_f32_e64 s1, 0xc2ce8ed0, v10
	s_delay_alu instid0(VALU_DEP_3) | instskip(SKIP_1) | instid1(TRANS32_DEP_1)
	v_exp_f32_e32 v11, v11
	v_nop
	v_ldexp_f32 v11, v11, v12
	s_delay_alu instid0(VALU_DEP_1) | instskip(SKIP_1) | instid1(VALU_DEP_1)
	v_cndmask_b32_e64 v11, 0, v11, s1
	v_cmp_nlt_f32_e64 s1, 0x42b17218, v10
	v_cndmask_b32_e64 v12, 0x7f800000, v11, s1
	ds_bpermute_b32 v10, v2, v12
	ds_store_b32 v1, v12 offset:128
	s_wait_dscnt 0x1
	v_add_f32_e32 v10, v12, v10
	ds_bpermute_b32 v11, v3, v10
	s_wait_dscnt 0x0
	v_add_f32_e32 v10, v10, v11
	ds_bpermute_b32 v11, v4, v10
	;; [unrolled: 3-line block ×4, first 2 shown]
	s_and_saveexec_b32 s1, vcc_lo
	s_cbranch_execz .LBB8_21
; %bb.20:
	s_wait_dscnt 0x0
	v_add_f32_e32 v10, v10, v11
	v_add_nc_u32_e32 v7, 0, v7
	ds_store_b32 v7, v10
.LBB8_21:
	s_or_b32 exec_lo, exec_lo, s1
	v_mov_b32_e32 v7, 0
	s_wait_dscnt 0x0
	s_barrier_signal -1
	s_barrier_wait -1
	s_and_saveexec_b32 s1, s0
; %bb.22:
	ds_load_b32 v7, v8
; %bb.23:
	s_or_b32 exec_lo, exec_lo, s1
	s_wait_dscnt 0x0
	ds_bpermute_b32 v2, v2, v7
	s_and_not1_b32 vcc_lo, exec_lo, s3
	s_lshl_b64 s[0:1], s[22:23], 8
	s_wait_dscnt 0x0
	v_add_f32_e32 v2, v7, v2
	ds_bpermute_b32 v3, v3, v2
	s_wait_dscnt 0x0
	v_add_f32_e32 v2, v2, v3
	ds_bpermute_b32 v3, v4, v2
	;; [unrolled: 3-line block ×4, first 2 shown]
	s_wait_dscnt 0x0
	v_add_f32_e32 v2, v2, v3
	s_cbranch_vccnz .LBB8_25
; %bb.24:
	s_load_b32 s2, s[16:17], s2 offset:0x0 scale_offset
	s_wait_kmcnt 0x0
	v_sub_f32_e32 v3, s2, v9
	s_delay_alu instid0(VALU_DEP_1) | instskip(NEXT) | instid1(VALU_DEP_1)
	v_mul_f32_e32 v4, 0x3fb8aa3b, v3
	v_fma_f32 v5, 0x3fb8aa3b, v3, -v4
	v_rndne_f32_e32 v6, v4
	s_delay_alu instid0(VALU_DEP_1) | instskip(SKIP_1) | instid1(VALU_DEP_4)
	v_sub_f32_e32 v4, v4, v6
	v_cmp_ngt_f32_e32 vcc_lo, 0xc2ce8ed0, v3
	v_fmamk_f32 v5, v3, 0x32a5705f, v5
	s_delay_alu instid0(VALU_DEP_1) | instskip(SKIP_1) | instid1(VALU_DEP_2)
	v_add_f32_e32 v4, v4, v5
	v_cvt_i32_f32_e32 v5, v6
	v_exp_f32_e32 v4, v4
	v_nop
	s_delay_alu instid0(TRANS32_DEP_1) | instskip(NEXT) | instid1(VALU_DEP_1)
	v_ldexp_f32 v4, v4, v5
	v_cndmask_b32_e32 v4, 0, v4, vcc_lo
	v_cmp_nlt_f32_e32 vcc_lo, 0x42b17218, v3
	s_delay_alu instid0(VALU_DEP_2) | instskip(NEXT) | instid1(VALU_DEP_1)
	v_cndmask_b32_e32 v3, 0x7f800000, v4, vcc_lo
	v_add_f32_e32 v2, v2, v3
.LBB8_25:
	s_delay_alu instid0(VALU_DEP_1) | instskip(SKIP_4) | instid1(SALU_CYCLE_1)
	v_div_scale_f32 v3, null, v2, v2, 1.0
	v_div_scale_f32 v6, vcc_lo, 1.0, v2, 1.0
	ds_load_b32 v1, v1 offset:128
	v_rcp_f32_e32 v4, v3
	s_lshl_b64 s[0:1], s[0:1], 2
	s_add_nc_u64 s[0:1], s[18:19], s[0:1]
	v_nop
	s_delay_alu instid0(TRANS32_DEP_1) | instskip(NEXT) | instid1(VALU_DEP_1)
	v_fma_f32 v5, -v3, v4, 1.0
	v_fmac_f32_e32 v4, v5, v4
	s_delay_alu instid0(VALU_DEP_1) | instskip(NEXT) | instid1(VALU_DEP_1)
	v_mul_f32_e32 v5, v6, v4
	v_fma_f32 v7, -v3, v5, v6
	s_delay_alu instid0(VALU_DEP_1) | instskip(NEXT) | instid1(VALU_DEP_1)
	v_fmac_f32_e32 v5, v7, v4
	v_fma_f32 v3, -v3, v5, v6
	s_delay_alu instid0(VALU_DEP_1) | instskip(NEXT) | instid1(VALU_DEP_1)
	v_div_fmas_f32 v3, v3, v4, v5
	v_div_fixup_f32 v2, v3, v2, 1.0
	s_wait_dscnt 0x0
	s_delay_alu instid0(VALU_DEP_1)
	v_mul_f32_e32 v1, v2, v1
	global_store_b32 v0, v1, s[0:1] scale_offset
	s_endpgm
	.section	.rodata,"a",@progbits
	.p2align	6, 0x0
	.amdhsa_kernel _ZL12soft_max_f32ILb1ELi256ELi256E6__halfEvPKfPKT2_S2_Pf15soft_max_params
		.amdhsa_group_segment_fixed_size 0
		.amdhsa_private_segment_fixed_size 0
		.amdhsa_kernarg_size 416
		.amdhsa_user_sgpr_count 2
		.amdhsa_user_sgpr_dispatch_ptr 0
		.amdhsa_user_sgpr_queue_ptr 0
		.amdhsa_user_sgpr_kernarg_segment_ptr 1
		.amdhsa_user_sgpr_dispatch_id 0
		.amdhsa_user_sgpr_kernarg_preload_length 0
		.amdhsa_user_sgpr_kernarg_preload_offset 0
		.amdhsa_user_sgpr_private_segment_size 0
		.amdhsa_wavefront_size32 1
		.amdhsa_uses_dynamic_stack 0
		.amdhsa_enable_private_segment 0
		.amdhsa_system_sgpr_workgroup_id_x 1
		.amdhsa_system_sgpr_workgroup_id_y 1
		.amdhsa_system_sgpr_workgroup_id_z 1
		.amdhsa_system_sgpr_workgroup_info 0
		.amdhsa_system_vgpr_workitem_id 0
		.amdhsa_next_free_vgpr 18
		.amdhsa_next_free_sgpr 36
		.amdhsa_named_barrier_count 0
		.amdhsa_reserve_vcc 1
		.amdhsa_float_round_mode_32 0
		.amdhsa_float_round_mode_16_64 0
		.amdhsa_float_denorm_mode_32 3
		.amdhsa_float_denorm_mode_16_64 3
		.amdhsa_fp16_overflow 0
		.amdhsa_memory_ordered 1
		.amdhsa_forward_progress 1
		.amdhsa_inst_pref_size 35
		.amdhsa_round_robin_scheduling 0
		.amdhsa_exception_fp_ieee_invalid_op 0
		.amdhsa_exception_fp_denorm_src 0
		.amdhsa_exception_fp_ieee_div_zero 0
		.amdhsa_exception_fp_ieee_overflow 0
		.amdhsa_exception_fp_ieee_underflow 0
		.amdhsa_exception_fp_ieee_inexact 0
		.amdhsa_exception_int_div_zero 0
	.end_amdhsa_kernel
	.section	.text._ZL12soft_max_f32ILb1ELi256ELi256E6__halfEvPKfPKT2_S2_Pf15soft_max_params,"axG",@progbits,_ZL12soft_max_f32ILb1ELi256ELi256E6__halfEvPKfPKT2_S2_Pf15soft_max_params,comdat
.Lfunc_end8:
	.size	_ZL12soft_max_f32ILb1ELi256ELi256E6__halfEvPKfPKT2_S2_Pf15soft_max_params, .Lfunc_end8-_ZL12soft_max_f32ILb1ELi256ELi256E6__halfEvPKfPKT2_S2_Pf15soft_max_params
                                        ; -- End function
	.set _ZL12soft_max_f32ILb1ELi256ELi256E6__halfEvPKfPKT2_S2_Pf15soft_max_params.num_vgpr, 18
	.set _ZL12soft_max_f32ILb1ELi256ELi256E6__halfEvPKfPKT2_S2_Pf15soft_max_params.num_agpr, 0
	.set _ZL12soft_max_f32ILb1ELi256ELi256E6__halfEvPKfPKT2_S2_Pf15soft_max_params.numbered_sgpr, 36
	.set _ZL12soft_max_f32ILb1ELi256ELi256E6__halfEvPKfPKT2_S2_Pf15soft_max_params.num_named_barrier, 0
	.set _ZL12soft_max_f32ILb1ELi256ELi256E6__halfEvPKfPKT2_S2_Pf15soft_max_params.private_seg_size, 0
	.set _ZL12soft_max_f32ILb1ELi256ELi256E6__halfEvPKfPKT2_S2_Pf15soft_max_params.uses_vcc, 1
	.set _ZL12soft_max_f32ILb1ELi256ELi256E6__halfEvPKfPKT2_S2_Pf15soft_max_params.uses_flat_scratch, 0
	.set _ZL12soft_max_f32ILb1ELi256ELi256E6__halfEvPKfPKT2_S2_Pf15soft_max_params.has_dyn_sized_stack, 0
	.set _ZL12soft_max_f32ILb1ELi256ELi256E6__halfEvPKfPKT2_S2_Pf15soft_max_params.has_recursion, 0
	.set _ZL12soft_max_f32ILb1ELi256ELi256E6__halfEvPKfPKT2_S2_Pf15soft_max_params.has_indirect_call, 0
	.section	.AMDGPU.csdata,"",@progbits
; Kernel info:
; codeLenInByte = 4384
; TotalNumSgprs: 38
; NumVgprs: 18
; ScratchSize: 0
; MemoryBound: 0
; FloatMode: 240
; IeeeMode: 1
; LDSByteSize: 0 bytes/workgroup (compile time only)
; SGPRBlocks: 0
; VGPRBlocks: 1
; NumSGPRsForWavesPerEU: 38
; NumVGPRsForWavesPerEU: 18
; NamedBarCnt: 0
; Occupancy: 16
; WaveLimiterHint : 1
; COMPUTE_PGM_RSRC2:SCRATCH_EN: 0
; COMPUTE_PGM_RSRC2:USER_SGPR: 2
; COMPUTE_PGM_RSRC2:TRAP_HANDLER: 0
; COMPUTE_PGM_RSRC2:TGID_X_EN: 1
; COMPUTE_PGM_RSRC2:TGID_Y_EN: 1
; COMPUTE_PGM_RSRC2:TGID_Z_EN: 1
; COMPUTE_PGM_RSRC2:TIDIG_COMP_CNT: 0
	.section	.text._ZL12soft_max_f32ILb1ELi128ELi128E6__halfEvPKfPKT2_S2_Pf15soft_max_params,"axG",@progbits,_ZL12soft_max_f32ILb1ELi128ELi128E6__halfEvPKfPKT2_S2_Pf15soft_max_params,comdat
	.globl	_ZL12soft_max_f32ILb1ELi128ELi128E6__halfEvPKfPKT2_S2_Pf15soft_max_params ; -- Begin function _ZL12soft_max_f32ILb1ELi128ELi128E6__halfEvPKfPKT2_S2_Pf15soft_max_params
	.p2align	8
	.type	_ZL12soft_max_f32ILb1ELi128ELi128E6__halfEvPKfPKT2_S2_Pf15soft_max_params,@function
_ZL12soft_max_f32ILb1ELi128ELi128E6__halfEvPKfPKT2_S2_Pf15soft_max_params: ; @_ZL12soft_max_f32ILb1ELi128ELi128E6__halfEvPKfPKT2_S2_Pf15soft_max_params
; %bb.0:
	s_clause 0x1
	s_load_b256 s[4:11], s[0:1], 0x68
	s_load_b64 s[12:13], s[0:1], 0x88
	s_bfe_u32 s2, ttmp6, 0x40010
	s_and_b32 s3, ttmp7, 0xffff
	s_add_co_i32 s2, s2, 1
	s_bfe_u32 s14, ttmp6, 0x40004
	s_mul_i32 s2, s3, s2
	s_getreg_b32 s28, hwreg(HW_REG_IB_STS2, 6, 4)
	s_add_co_i32 s14, s14, s2
	s_cmp_eq_u32 s28, 0
	s_cselect_b32 s2, s3, s14
	s_mov_b32 s3, 0
	s_wait_kmcnt 0x0
	s_and_b64 s[14:15], s[10:11], 0xffffffff00000000
	s_delay_alu instid0(SALU_CYCLE_1)
	s_cmp_lg_u64 s[14:15], 0
	s_cbranch_scc0 .LBB9_10
; %bb.1:
	s_ashr_i32 s14, s11, 31
	s_mov_b32 s21, s3
	s_mov_b32 s15, s14
	s_mov_b32 s25, s3
	s_add_nc_u64 s[16:17], s[10:11], s[14:15]
	s_delay_alu instid0(SALU_CYCLE_1) | instskip(NEXT) | instid1(SALU_CYCLE_1)
	s_xor_b64 s[14:15], s[16:17], s[14:15]
	s_cvt_f32_u32 s11, s14
	s_cvt_f32_u32 s16, s15
	s_sub_nc_u64 s[18:19], 0, s[14:15]
	s_delay_alu instid0(SALU_CYCLE_2) | instskip(NEXT) | instid1(SALU_CYCLE_3)
	s_fmamk_f32 s11, s16, 0x4f800000, s11
	v_s_rcp_f32 s11, s11
	s_delay_alu instid0(TRANS32_DEP_1) | instskip(NEXT) | instid1(SALU_CYCLE_3)
	s_mul_f32 s11, s11, 0x5f7ffffc
	s_mul_f32 s16, s11, 0x2f800000
	s_delay_alu instid0(SALU_CYCLE_3) | instskip(NEXT) | instid1(SALU_CYCLE_3)
	s_trunc_f32 s16, s16
	s_fmamk_f32 s11, s16, 0xcf800000, s11
	s_cvt_u32_f32 s17, s16
	s_delay_alu instid0(SALU_CYCLE_2) | instskip(NEXT) | instid1(SALU_CYCLE_3)
	s_cvt_u32_f32 s16, s11
	s_mul_u64 s[22:23], s[18:19], s[16:17]
	s_delay_alu instid0(SALU_CYCLE_1)
	s_mul_hi_u32 s27, s16, s23
	s_mul_i32 s26, s16, s23
	s_mul_hi_u32 s20, s16, s22
	s_mul_i32 s24, s17, s22
	s_add_nc_u64 s[20:21], s[20:21], s[26:27]
	s_mul_hi_u32 s11, s17, s22
	s_mul_hi_u32 s29, s17, s23
	s_add_co_u32 s20, s20, s24
	s_add_co_ci_u32 s24, s21, s11
	s_mul_i32 s22, s17, s23
	s_add_co_ci_u32 s23, s29, 0
	s_delay_alu instid0(SALU_CYCLE_1) | instskip(SKIP_3) | instid1(SALU_CYCLE_1)
	s_add_nc_u64 s[20:21], s[24:25], s[22:23]
	s_mov_b32 s23, s3
	s_add_co_u32 s16, s16, s20
	s_cselect_b32 s11, -1, 0
	s_cmp_lg_u32 s11, 0
	s_add_co_ci_u32 s17, s17, s21
	s_mov_b32 s21, s3
	s_mul_u64 s[18:19], s[18:19], s[16:17]
	s_delay_alu instid0(SALU_CYCLE_1)
	s_mul_hi_u32 s25, s16, s19
	s_mul_i32 s24, s16, s19
	s_mul_hi_u32 s20, s16, s18
	s_mul_i32 s22, s17, s18
	s_add_nc_u64 s[20:21], s[20:21], s[24:25]
	s_mul_hi_u32 s11, s17, s18
	s_mul_hi_u32 s26, s17, s19
	s_mul_i32 s18, s17, s19
	s_add_co_u32 s19, s20, s22
	s_add_co_ci_u32 s22, s21, s11
	s_add_co_ci_u32 s19, s26, 0
	s_add_nc_u64 s[20:21], s[2:3], 0
	s_add_nc_u64 s[18:19], s[22:23], s[18:19]
	s_delay_alu instid0(SALU_CYCLE_1) | instskip(SKIP_1) | instid1(SALU_CYCLE_1)
	s_add_co_u32 s11, s16, s18
	s_cselect_b32 s16, -1, 0
	s_cmp_lg_u32 s16, 0
	s_add_co_ci_u32 s18, s17, s19
	s_xor_b64 s[16:17], s[20:21], 0
	s_mov_b32 s19, s3
	s_mul_hi_u32 s21, s16, s18
	s_mul_i32 s20, s16, s18
	s_mul_hi_u32 s22, s16, s11
	s_mul_hi_u32 s25, s17, s11
	s_mul_i32 s11, s17, s11
	s_add_nc_u64 s[20:21], s[22:23], s[20:21]
	s_mul_hi_u32 s24, s17, s18
	s_add_co_u32 s11, s20, s11
	s_mul_i32 s22, s17, s18
	s_add_co_ci_u32 s18, s21, s25
	s_add_co_ci_u32 s23, s24, 0
	s_delay_alu instid0(SALU_CYCLE_1) | instskip(NEXT) | instid1(SALU_CYCLE_1)
	s_add_nc_u64 s[18:19], s[18:19], s[22:23]
	s_and_b64 s[20:21], s[18:19], 0xffffffff00000000
	s_delay_alu instid0(SALU_CYCLE_1) | instskip(NEXT) | instid1(SALU_CYCLE_1)
	s_or_b32 s20, s20, s18
	s_mul_u64 s[18:19], s[14:15], s[20:21]
	s_delay_alu instid0(SALU_CYCLE_1)
	s_sub_co_u32 s11, s16, s18
	s_cselect_b32 s16, -1, 0
	s_sub_co_i32 s18, s17, s19
	s_cmp_lg_u32 s16, 0
	s_sub_co_ci_u32 s18, s18, s15
	s_sub_co_u32 s20, s11, s14
	s_cselect_b32 s21, -1, 0
	s_delay_alu instid0(SALU_CYCLE_1) | instskip(SKIP_1) | instid1(SALU_CYCLE_1)
	s_cmp_lg_u32 s21, 0
	s_sub_co_ci_u32 s22, s18, 0
	s_cmp_ge_u32 s22, s15
	s_cselect_b32 s23, -1, 0
	s_cmp_ge_u32 s20, s14
	s_cselect_b32 s24, -1, 0
	s_cmp_eq_u32 s22, s15
	s_cselect_b32 s23, s24, s23
	s_cmp_lg_u32 s21, 0
	s_sub_co_ci_u32 s18, s18, s15
	s_sub_co_u32 s21, s20, s14
	s_cselect_b32 s24, -1, 0
	s_delay_alu instid0(SALU_CYCLE_1)
	s_cmp_lg_u32 s24, 0
	s_sub_co_ci_u32 s18, s18, 0
	s_cmp_lg_u32 s23, 0
	s_cselect_b32 s20, s21, s20
	s_cselect_b32 s18, s18, s22
	s_cmp_lg_u32 s16, 0
	s_sub_co_ci_u32 s16, s17, s19
	s_delay_alu instid0(SALU_CYCLE_1)
	s_cmp_ge_u32 s16, s15
	s_cselect_b32 s17, -1, 0
	s_cmp_ge_u32 s11, s14
	s_cselect_b32 s14, -1, 0
	s_cmp_eq_u32 s16, s15
	s_cselect_b32 s14, s14, s17
	s_delay_alu instid0(SALU_CYCLE_1) | instskip(SKIP_2) | instid1(SALU_CYCLE_1)
	s_cmp_lg_u32 s14, 0
	s_cselect_b32 s15, s18, s16
	s_cselect_b32 s14, s20, s11
	s_xor_b64 s[14:15], s[14:15], 0
	s_delay_alu instid0(SALU_CYCLE_1)
	s_sub_nc_u64 s[20:21], s[14:15], 0
	s_and_not1_b32 vcc_lo, exec_lo, s3
	s_cbranch_vccnz .LBB9_3
.LBB9_2:
	v_cvt_f32_u32_e32 v1, s10
	s_sub_co_i32 s11, 0, s10
	s_mov_b32 s21, 0
	s_delay_alu instid0(VALU_DEP_1) | instskip(SKIP_1) | instid1(TRANS32_DEP_1)
	v_rcp_iflag_f32_e32 v1, v1
	v_nop
	v_mul_f32_e32 v1, 0x4f7ffffe, v1
	s_delay_alu instid0(VALU_DEP_1) | instskip(NEXT) | instid1(VALU_DEP_1)
	v_cvt_u32_f32_e32 v1, v1
	v_readfirstlane_b32 s3, v1
	s_mul_i32 s11, s11, s3
	s_delay_alu instid0(SALU_CYCLE_1) | instskip(NEXT) | instid1(SALU_CYCLE_1)
	s_mul_hi_u32 s11, s3, s11
	s_add_co_i32 s3, s3, s11
	s_delay_alu instid0(SALU_CYCLE_1) | instskip(NEXT) | instid1(SALU_CYCLE_1)
	s_mul_hi_u32 s3, s2, s3
	s_mul_i32 s3, s3, s10
	s_delay_alu instid0(SALU_CYCLE_1) | instskip(NEXT) | instid1(SALU_CYCLE_1)
	s_sub_co_i32 s3, s2, s3
	s_sub_co_i32 s11, s3, s10
	s_cmp_ge_u32 s3, s10
	s_cselect_b32 s3, s11, s3
	s_delay_alu instid0(SALU_CYCLE_1)
	s_sub_co_i32 s11, s3, s10
	s_cmp_ge_u32 s3, s10
	s_cselect_b32 s20, s11, s3
.LBB9_3:
	s_load_b64 s[10:11], s[0:1], 0x90
	s_bfe_u32 s3, ttmp6, 0x40014
	s_lshr_b32 s14, ttmp7, 16
	s_add_co_i32 s3, s3, 1
	s_bfe_u32 s15, ttmp6, 0x40008
	s_mul_i32 s3, s14, s3
	s_mov_b32 s23, 0
	s_add_co_i32 s15, s15, s3
	s_cmp_eq_u32 s28, 0
	s_cselect_b32 s22, s14, s15
	s_and_b64 s[14:15], s[12:13], 0xffffffff00000000
	s_delay_alu instid0(SALU_CYCLE_1)
	s_cmp_lg_u64 s[14:15], 0
	s_cbranch_scc0 .LBB9_11
; %bb.4:
	s_ashr_i32 s14, s13, 31
	s_mov_b32 s25, s23
	s_mov_b32 s15, s14
	;; [unrolled: 1-line block ×3, first 2 shown]
	s_add_nc_u64 s[16:17], s[12:13], s[14:15]
	s_delay_alu instid0(SALU_CYCLE_1) | instskip(NEXT) | instid1(SALU_CYCLE_1)
	s_xor_b64 s[14:15], s[16:17], s[14:15]
	s_cvt_f32_u32 s3, s14
	s_cvt_f32_u32 s13, s15
	s_sub_nc_u64 s[18:19], 0, s[14:15]
	s_delay_alu instid0(SALU_CYCLE_2) | instskip(NEXT) | instid1(SALU_CYCLE_3)
	s_fmamk_f32 s3, s13, 0x4f800000, s3
	v_s_rcp_f32 s3, s3
	s_delay_alu instid0(TRANS32_DEP_1) | instskip(NEXT) | instid1(SALU_CYCLE_3)
	s_mul_f32 s3, s3, 0x5f7ffffc
	s_mul_f32 s13, s3, 0x2f800000
	s_delay_alu instid0(SALU_CYCLE_3) | instskip(NEXT) | instid1(SALU_CYCLE_3)
	s_trunc_f32 s13, s13
	s_fmamk_f32 s3, s13, 0xcf800000, s3
	s_cvt_u32_f32 s17, s13
	s_delay_alu instid0(SALU_CYCLE_2) | instskip(NEXT) | instid1(SALU_CYCLE_3)
	s_cvt_u32_f32 s16, s3
	s_mul_u64 s[26:27], s[18:19], s[16:17]
	s_delay_alu instid0(SALU_CYCLE_1)
	s_mul_hi_u32 s35, s16, s27
	s_mul_i32 s34, s16, s27
	s_mul_hi_u32 s24, s16, s26
	s_mul_i32 s13, s17, s26
	s_add_nc_u64 s[24:25], s[24:25], s[34:35]
	s_mul_hi_u32 s3, s17, s26
	s_mul_hi_u32 s29, s17, s27
	s_add_co_u32 s13, s24, s13
	s_add_co_ci_u32 s30, s25, s3
	s_mul_i32 s26, s17, s27
	s_add_co_ci_u32 s27, s29, 0
	s_delay_alu instid0(SALU_CYCLE_1) | instskip(SKIP_3) | instid1(SALU_CYCLE_1)
	s_add_nc_u64 s[24:25], s[30:31], s[26:27]
	s_mov_b32 s27, s23
	s_add_co_u32 s16, s16, s24
	s_cselect_b32 s3, -1, 0
	s_cmp_lg_u32 s3, 0
	s_add_co_ci_u32 s17, s17, s25
	s_mov_b32 s25, s23
	s_mul_u64 s[18:19], s[18:19], s[16:17]
	s_delay_alu instid0(SALU_CYCLE_1)
	s_mul_hi_u32 s31, s16, s19
	s_mul_i32 s30, s16, s19
	s_mul_hi_u32 s24, s16, s18
	s_mul_i32 s13, s17, s18
	s_add_nc_u64 s[24:25], s[24:25], s[30:31]
	s_mul_hi_u32 s3, s17, s18
	s_mul_hi_u32 s29, s17, s19
	s_add_co_u32 s13, s24, s13
	s_add_co_ci_u32 s26, s25, s3
	s_mul_i32 s18, s17, s19
	s_add_co_ci_u32 s19, s29, 0
	s_add_nc_u64 s[24:25], s[22:23], 0
	s_add_nc_u64 s[18:19], s[26:27], s[18:19]
	s_delay_alu instid0(SALU_CYCLE_1) | instskip(SKIP_1) | instid1(SALU_CYCLE_1)
	s_add_co_u32 s3, s16, s18
	s_cselect_b32 s13, -1, 0
	s_cmp_lg_u32 s13, 0
	s_add_co_ci_u32 s13, s17, s19
	s_xor_b64 s[16:17], s[24:25], 0
	s_mov_b32 s19, s23
	s_mul_hi_u32 s25, s16, s13
	s_mul_i32 s24, s16, s13
	s_mul_hi_u32 s26, s16, s3
	s_mul_hi_u32 s18, s17, s3
	s_mul_i32 s3, s17, s3
	s_add_nc_u64 s[24:25], s[26:27], s[24:25]
	s_mul_hi_u32 s29, s17, s13
	s_add_co_u32 s3, s24, s3
	s_add_co_ci_u32 s18, s25, s18
	s_mul_i32 s26, s17, s13
	s_add_co_ci_u32 s27, s29, 0
	s_delay_alu instid0(SALU_CYCLE_1) | instskip(NEXT) | instid1(SALU_CYCLE_1)
	s_add_nc_u64 s[18:19], s[18:19], s[26:27]
	s_and_b64 s[24:25], s[18:19], 0xffffffff00000000
	s_delay_alu instid0(SALU_CYCLE_1) | instskip(NEXT) | instid1(SALU_CYCLE_1)
	s_or_b32 s24, s24, s18
	s_mul_u64 s[18:19], s[14:15], s[24:25]
	s_delay_alu instid0(SALU_CYCLE_1)
	s_sub_co_u32 s3, s16, s18
	s_cselect_b32 s13, -1, 0
	s_sub_co_i32 s16, s17, s19
	s_cmp_lg_u32 s13, 0
	s_sub_co_ci_u32 s16, s16, s15
	s_sub_co_u32 s18, s3, s14
	s_cselect_b32 s24, -1, 0
	s_delay_alu instid0(SALU_CYCLE_1) | instskip(SKIP_1) | instid1(SALU_CYCLE_1)
	s_cmp_lg_u32 s24, 0
	s_sub_co_ci_u32 s25, s16, 0
	s_cmp_ge_u32 s25, s15
	s_cselect_b32 s26, -1, 0
	s_cmp_ge_u32 s18, s14
	s_cselect_b32 s27, -1, 0
	s_cmp_eq_u32 s25, s15
	s_cselect_b32 s26, s27, s26
	s_cmp_lg_u32 s24, 0
	s_sub_co_ci_u32 s16, s16, s15
	s_sub_co_u32 s24, s18, s14
	s_cselect_b32 s27, -1, 0
	s_delay_alu instid0(SALU_CYCLE_1)
	s_cmp_lg_u32 s27, 0
	s_sub_co_ci_u32 s16, s16, 0
	s_cmp_lg_u32 s26, 0
	s_cselect_b32 s18, s24, s18
	s_cselect_b32 s16, s16, s25
	s_cmp_lg_u32 s13, 0
	s_sub_co_ci_u32 s13, s17, s19
	s_delay_alu instid0(SALU_CYCLE_1)
	s_cmp_ge_u32 s13, s15
	s_cselect_b32 s17, -1, 0
	s_cmp_ge_u32 s3, s14
	s_cselect_b32 s14, -1, 0
	s_cmp_eq_u32 s13, s15
	s_cselect_b32 s14, s14, s17
	s_delay_alu instid0(SALU_CYCLE_1) | instskip(SKIP_2) | instid1(SALU_CYCLE_1)
	s_cmp_lg_u32 s14, 0
	s_cselect_b32 s15, s16, s13
	s_cselect_b32 s14, s18, s3
	s_xor_b64 s[14:15], s[14:15], 0
	s_delay_alu instid0(SALU_CYCLE_1)
	s_sub_nc_u64 s[24:25], s[14:15], 0
	s_and_not1_b32 vcc_lo, exec_lo, s23
	s_cbranch_vccnz .LBB9_6
.LBB9_5:
	v_cvt_f32_u32_e32 v1, s12
	s_sub_co_i32 s13, 0, s12
	s_mov_b32 s25, 0
	s_delay_alu instid0(VALU_DEP_1) | instskip(SKIP_1) | instid1(TRANS32_DEP_1)
	v_rcp_iflag_f32_e32 v1, v1
	v_nop
	v_mul_f32_e32 v1, 0x4f7ffffe, v1
	s_delay_alu instid0(VALU_DEP_1) | instskip(NEXT) | instid1(VALU_DEP_1)
	v_cvt_u32_f32_e32 v1, v1
	v_readfirstlane_b32 s3, v1
	s_mul_i32 s13, s13, s3
	s_delay_alu instid0(SALU_CYCLE_1) | instskip(NEXT) | instid1(SALU_CYCLE_1)
	s_mul_hi_u32 s13, s3, s13
	s_add_co_i32 s3, s3, s13
	s_delay_alu instid0(SALU_CYCLE_1) | instskip(NEXT) | instid1(SALU_CYCLE_1)
	s_mul_hi_u32 s3, s22, s3
	s_mul_i32 s3, s3, s12
	s_delay_alu instid0(SALU_CYCLE_1) | instskip(NEXT) | instid1(SALU_CYCLE_1)
	s_sub_co_i32 s3, s22, s3
	s_sub_co_i32 s13, s3, s12
	s_cmp_ge_u32 s3, s12
	s_cselect_b32 s3, s13, s3
	s_delay_alu instid0(SALU_CYCLE_1)
	s_sub_co_i32 s13, s3, s12
	s_cmp_ge_u32 s3, s12
	s_cselect_b32 s24, s13, s3
.LBB9_6:
	s_load_b64 s[26:27], s[0:1], 0xa0
	v_mov_b32_e32 v1, 1.0
	s_wait_kmcnt 0x0
	s_cmp_le_f32 s11, 0
	s_cbranch_scc1 .LBB9_8
; %bb.7:
	s_clause 0x1
	s_load_b32 s3, s[0:1], 0x28
	s_load_b64 s[12:13], s[0:1], 0x98
	s_add_co_i32 s14, s2, 1
	s_wait_kmcnt 0x0
	s_sub_co_i32 s11, s2, s3
	s_delay_alu instid0(SALU_CYCLE_1) | instskip(NEXT) | instid1(SALU_CYCLE_1)
	s_lshl_b32 s11, s11, 1
	s_or_b32 s11, s11, 1
	s_cmp_lt_u32 s2, s3
	s_cselect_b32 s3, s14, s11
	s_cselect_b32 s12, s12, s13
	s_cvt_f32_i32 s3, s3
	s_cmp_neq_f32 s12, 1.0
	s_delay_alu instid0(SALU_CYCLE_2) | instskip(NEXT) | instid1(SALU_CYCLE_1)
	s_cselect_b32 s11, s3, 1.0
	s_cmp_neq_f32 s11, 0
	s_cselect_b32 s3, s12, 1.0
	s_delay_alu instid0(SALU_CYCLE_1) | instskip(NEXT) | instid1(VALU_DEP_1)
	v_cvt_f64_f32_e64 v[2:3], |s3|
	v_frexp_exp_i32_f64_e32 v1, v[2:3]
	v_frexp_mant_f32_e64 v2, |s3|
	s_delay_alu instid0(VALU_DEP_1) | instskip(SKIP_2) | instid1(SALU_CYCLE_1)
	v_readfirstlane_b32 s12, v2
	s_cmp_lt_f32 s12, 0x3f2aaaab
	s_cselect_b32 vcc_lo, -1, 0
	s_and_b32 s13, vcc_lo, exec_lo
	s_cselect_b32 s13, 2.0, 1.0
	s_delay_alu instid0(SALU_CYCLE_1) | instskip(NEXT) | instid1(SALU_CYCLE_3)
	s_mul_f32 s12, s12, s13
	s_add_f32 s13, s12, 1.0
	s_add_f32 s15, s12, -1.0
	s_delay_alu instid0(SALU_CYCLE_2) | instskip(SKIP_2) | instid1(SALU_CYCLE_2)
	v_s_rcp_f32 s14, s13
	s_add_f32 s18, s13, -1.0
	v_subrev_co_ci_u32_e64 v1, null, 0, v1, vcc_lo
	s_sub_f32 s12, s12, s18
	s_delay_alu instid0(TRANS32_DEP_1) | instskip(SKIP_1) | instid1(SALU_CYCLE_2)
	s_mul_f32 s16, s15, s14
	v_cvt_f32_i32_e32 v1, v1
	s_mul_f32 s17, s13, s16
	s_delay_alu instid0(SALU_CYCLE_3) | instskip(SKIP_1) | instid1(SALU_CYCLE_1)
	v_dual_mov_b32 v3, s15 :: v_dual_mov_b32 v4, s17
	s_xor_b32 s19, s17, 0x80000000
	s_fmac_f32 s19, s16, s13
	s_delay_alu instid0(SALU_CYCLE_3) | instskip(NEXT) | instid1(SALU_CYCLE_3)
	s_fmac_f32 s19, s16, s12
	s_add_f32 s12, s17, s19
	v_mov_b32_e32 v6, s19
	s_mov_b32 s17, 0x3e76c4e1
	s_delay_alu instid0(SALU_CYCLE_1) | instskip(SKIP_1) | instid1(SALU_CYCLE_2)
	s_sub_f32 s13, s15, s12
	v_dual_mov_b32 v2, s12 :: v_dual_mov_b32 v7, s12
	v_mov_b32_e32 v5, s13
	s_delay_alu instid0(VALU_DEP_1) | instskip(NEXT) | instid1(VALU_DEP_1)
	v_pk_add_f32 v[2:3], v[2:3], v[4:5] neg_lo:[0,1] neg_hi:[0,1]
	v_pk_add_f32 v[2:3], v[2:3], v[6:7] neg_lo:[0,1] neg_hi:[0,1]
	s_delay_alu instid0(VALU_DEP_1) | instskip(NEXT) | instid1(VALU_DEP_2)
	v_readfirstlane_b32 s12, v3
	v_readfirstlane_b32 s15, v2
	s_add_f32 s12, s15, s12
	s_delay_alu instid0(SALU_CYCLE_3) | instskip(NEXT) | instid1(SALU_CYCLE_3)
	s_add_f32 s12, s13, s12
	s_mul_f32 s13, s14, s12
	s_delay_alu instid0(SALU_CYCLE_3) | instskip(NEXT) | instid1(SALU_CYCLE_3)
	s_add_f32 s12, s16, s13
	s_sub_f32 s14, s12, s16
	s_mul_f32 s15, s12, s12
	s_delay_alu instid0(SALU_CYCLE_2) | instskip(NEXT) | instid1(SALU_CYCLE_2)
	s_sub_f32 s16, s13, s14
	s_xor_b32 s13, s15, 0x80000000
	s_delay_alu instid0(SALU_CYCLE_1) | instskip(NEXT) | instid1(SALU_CYCLE_1)
	s_fmac_f32 s13, s12, s12
	s_add_f32 s14, s16, s16
	s_delay_alu instid0(SALU_CYCLE_3) | instskip(NEXT) | instid1(SALU_CYCLE_3)
	s_fmac_f32 s13, s12, s14
	s_add_f32 s14, s15, s13
	s_delay_alu instid0(SALU_CYCLE_3) | instskip(SKIP_1) | instid1(SALU_CYCLE_2)
	s_fmaak_f32 s17, s14, s17, 0x3e91f4c4
	s_sub_f32 s15, s14, s15
	s_fmaak_f32 s17, s14, s17, 0x3ecccdef
	s_delay_alu instid0(SALU_CYCLE_2) | instskip(NEXT) | instid1(SALU_CYCLE_2)
	s_sub_f32 s23, s13, s15
	s_mul_f32 s18, s14, s17
	s_delay_alu instid0(SALU_CYCLE_3) | instskip(NEXT) | instid1(SALU_CYCLE_1)
	s_xor_b32 s19, s18, 0x80000000
	s_fmac_f32 s19, s14, s17
	s_delay_alu instid0(SALU_CYCLE_3) | instskip(NEXT) | instid1(SALU_CYCLE_3)
	s_fmac_f32 s19, s23, s17
	s_add_f32 s15, s18, s19
	s_delay_alu instid0(SALU_CYCLE_3) | instskip(SKIP_1) | instid1(SALU_CYCLE_2)
	s_sub_f32 s13, s15, s18
	s_add_f32 s17, s15, 0x3f2aaaaa
	s_sub_f32 s13, s19, s13
	s_delay_alu instid0(SALU_CYCLE_2) | instskip(NEXT) | instid1(SALU_CYCLE_2)
	s_add_f32 s18, s17, 0xbf2aaaaa
	s_add_f32 s13, s13, 0x31739010
	s_delay_alu instid0(SALU_CYCLE_2) | instskip(NEXT) | instid1(SALU_CYCLE_2)
	s_sub_f32 s15, s15, s18
	v_mov_b64_e32 v[2:3], s[12:13]
	s_delay_alu instid0(SALU_CYCLE_2) | instskip(NEXT) | instid1(VALU_DEP_1)
	v_mov_b64_e32 v[4:5], s[14:15]
	v_pk_mul_f32 v[6:7], v[2:3], v[4:5]
	v_pk_add_f32 v[2:3], v[2:3], v[4:5]
	v_mov_b32_e32 v9, s17
	s_delay_alu instid0(VALU_DEP_3) | instskip(NEXT) | instid1(VALU_DEP_3)
	v_xor_b32_e32 v8, 0x80000000, v6
	v_mov_b32_e32 v7, v3
	s_delay_alu instid0(VALU_DEP_2) | instskip(NEXT) | instid1(VALU_DEP_1)
	v_fmac_f32_e64 v8, s14, s12
	v_fmac_f32_e64 v8, s14, s16
	s_delay_alu instid0(VALU_DEP_1) | instskip(NEXT) | instid1(VALU_DEP_1)
	v_fmac_f32_e64 v8, s23, s12
	v_pk_add_f32 v[4:5], v[6:7], v[8:9]
	s_delay_alu instid0(VALU_DEP_1) | instskip(SKIP_1) | instid1(VALU_DEP_2)
	v_dual_mov_b32 v2, v5 :: v_dual_sub_f32 v7, s17, v5
	v_mul_f32_e32 v12, 0x3f317218, v1
	v_pk_mul_f32 v[10:11], v[4:5], v[2:3]
	s_delay_alu instid0(VALU_DEP_3) | instskip(NEXT) | instid1(VALU_DEP_3)
	v_add_f32_e32 v3, v3, v7
	v_xor_b32_e32 v7, 0x80000000, v12
	s_delay_alu instid0(VALU_DEP_3) | instskip(NEXT) | instid1(VALU_DEP_2)
	v_xor_b32_e32 v2, 0x80000000, v10
	v_dual_sub_f32 v6, v4, v6 :: v_dual_fmac_f32 v7, 0x3f317218, v1
	s_delay_alu instid0(VALU_DEP_2) | instskip(NEXT) | instid1(VALU_DEP_2)
	v_fmac_f32_e32 v2, v4, v5
	v_sub_f32_e32 v6, v8, v6
	s_delay_alu instid0(VALU_DEP_2) | instskip(NEXT) | instid1(VALU_DEP_1)
	v_fmac_f32_e32 v2, v4, v3
	v_fmac_f32_e32 v2, v6, v5
	v_fmamk_f32 v4, v1, 0xb102e308, v7
	v_ldexp_f32 v5, s12, 1
	v_ldexp_f32 v1, s16, 1
	s_delay_alu instid0(VALU_DEP_2) | instskip(NEXT) | instid1(VALU_DEP_1)
	v_dual_add_f32 v13, v10, v2 :: v_dual_mov_b32 v11, v5
	v_pk_add_f32 v[6:7], v[12:13], v[4:5]
	v_dual_mov_b32 v8, v13 :: v_dual_mov_b32 v3, v13
	s_delay_alu instid0(VALU_DEP_2) | instskip(SKIP_1) | instid1(VALU_DEP_2)
	v_dual_mov_b32 v9, v7 :: v_dual_mov_b32 v5, v6
	v_mov_b32_e32 v14, v7
	v_pk_add_f32 v[8:9], v[8:9], v[10:11] neg_lo:[0,1] neg_hi:[0,1]
	s_delay_alu instid0(VALU_DEP_1) | instskip(NEXT) | instid1(VALU_DEP_1)
	v_pk_add_f32 v[2:3], v[2:3], v[8:9] neg_lo:[0,1] neg_hi:[0,1]
	v_add_f32_e32 v1, v1, v2
	s_delay_alu instid0(VALU_DEP_1) | instskip(NEXT) | instid1(VALU_DEP_1)
	v_add_f32_e32 v13, v1, v3
	v_pk_add_f32 v[2:3], v[6:7], v[12:13]
	v_pk_add_f32 v[8:9], v[6:7], v[12:13] neg_lo:[0,1] neg_hi:[0,1]
	s_delay_alu instid0(VALU_DEP_2) | instskip(NEXT) | instid1(VALU_DEP_1)
	v_mov_b32_e32 v9, v3
	v_pk_add_f32 v[10:11], v[4:5], v[8:9]
	v_pk_add_f32 v[4:5], v[4:5], v[8:9] neg_lo:[0,1] neg_hi:[0,1]
	v_dual_mov_b32 v16, v3 :: v_dual_mov_b32 v5, v6
	s_delay_alu instid0(VALU_DEP_3) | instskip(NEXT) | instid1(VALU_DEP_3)
	v_dual_mov_b32 v12, v11 :: v_dual_mov_b32 v17, v11
	v_readfirstlane_b32 s12, v4
	s_delay_alu instid0(VALU_DEP_2) | instskip(NEXT) | instid1(VALU_DEP_2)
	v_pk_add_f32 v[8:9], v[12:13], v[6:7] neg_lo:[0,1] neg_hi:[0,1]
	v_dual_mov_b32 v4, v13 :: v_dual_mov_b32 v10, s12
	s_delay_alu instid0(VALU_DEP_2) | instskip(NEXT) | instid1(VALU_DEP_1)
	v_dual_mov_b32 v15, v8 :: v_dual_mov_b32 v1, v8
	v_pk_add_f32 v[6:7], v[16:17], v[14:15] neg_lo:[0,1] neg_hi:[0,1]
	s_delay_alu instid0(VALU_DEP_2) | instskip(SKIP_1) | instid1(VALU_DEP_3)
	v_pk_add_f32 v[2:3], v[2:3], v[0:1] neg_lo:[0,1] neg_hi:[0,1]
	v_mov_b32_e32 v2, s12
	v_pk_add_f32 v[4:5], v[4:5], v[6:7] neg_lo:[0,1] neg_hi:[0,1]
	s_delay_alu instid0(VALU_DEP_1) | instskip(NEXT) | instid1(VALU_DEP_1)
	v_pk_add_f32 v[2:3], v[2:3], v[4:5]
	v_readfirstlane_b32 s13, v2
	s_delay_alu instid0(VALU_DEP_2) | instskip(NEXT) | instid1(VALU_DEP_1)
	v_mov_b32_e32 v6, v3
	v_pk_add_f32 v[6:7], v[2:3], v[6:7]
	s_delay_alu instid0(VALU_DEP_3) | instskip(NEXT) | instid1(VALU_DEP_2)
	v_mov_b32_e32 v2, s13
	v_pk_add_f32 v[8:9], v[12:13], v[6:7]
	v_mov_b32_e32 v5, v6
	s_delay_alu instid0(VALU_DEP_2) | instskip(NEXT) | instid1(VALU_DEP_1)
	v_readfirstlane_b32 s14, v8
	v_mov_b32_e32 v3, s14
	s_delay_alu instid0(VALU_DEP_1) | instskip(NEXT) | instid1(VALU_DEP_1)
	v_pk_add_f32 v[2:3], v[2:3], v[10:11] neg_lo:[0,1] neg_hi:[0,1]
	v_readfirstlane_b32 s15, v2
	s_delay_alu instid0(VALU_DEP_2) | instskip(SKIP_1) | instid1(VALU_DEP_1)
	v_pk_add_f32 v[2:3], v[4:5], v[2:3] neg_lo:[0,1] neg_hi:[0,1]
	s_sub_f32 s13, s13, s15
	v_readfirstlane_b32 s15, v2
	s_delay_alu instid0(SALU_CYCLE_2) | instskip(SKIP_1) | instid1(SALU_CYCLE_2)
	s_sub_f32 s12, s12, s13
	v_readfirstlane_b32 s13, v3
	s_add_f32 s12, s15, s12
	s_delay_alu instid0(SALU_CYCLE_3) | instskip(NEXT) | instid1(SALU_CYCLE_3)
	s_add_f32 s12, s12, s13
	s_add_f32 s13, s14, s12
	s_delay_alu instid0(SALU_CYCLE_3) | instskip(SKIP_1) | instid1(SALU_CYCLE_2)
	s_mul_f32 s15, s11, s13
	s_sub_f32 s14, s13, s14
	s_xor_b32 s16, s15, 0x80000000
	s_delay_alu instid0(SALU_CYCLE_2) | instskip(SKIP_1) | instid1(SALU_CYCLE_3)
	s_sub_f32 s12, s12, s14
	s_fmac_f32 s16, s11, s13
	s_fmac_f32 s16, s11, s12
	v_cmp_class_f32_e64 s12, s15, 0x204
	s_delay_alu instid0(SALU_CYCLE_2) | instskip(SKIP_1) | instid1(SALU_CYCLE_2)
	s_add_f32 s13, s15, s16
	s_and_b32 s12, s12, exec_lo
	s_sub_f32 s12, s13, s15
	s_cselect_b32 s13, s15, s13
	s_delay_alu instid0(SALU_CYCLE_1) | instskip(NEXT) | instid1(SALU_CYCLE_1)
	s_and_b32 s14, s13, 0x7fffffff
	s_sub_f32 s12, s16, s12
	s_cmp_neq_f32 s14, 0x7f800000
	s_delay_alu instid0(SALU_CYCLE_2) | instskip(SKIP_2) | instid1(SALU_CYCLE_1)
	s_cselect_b32 s12, s12, 0
	s_cmp_eq_f32 s13, 0x42b17218
	s_cselect_b32 s14, 0x37000000, 0
	s_sub_f32 s13, s13, s14
	s_add_f32 s12, s14, s12
	s_delay_alu instid0(SALU_CYCLE_2) | instskip(NEXT) | instid1(SALU_CYCLE_3)
	s_mul_f32 s15, s13, 0x3fb8aa3b
	s_xor_b32 s16, s15, 0x80000000
	s_rndne_f32 s17, s15
	s_fmamk_f32 s16, s13, 0x3fb8aa3b, s16
	s_cmp_nlt_f32 s13, 0xc2ce8ed0
	s_delay_alu instid0(SALU_CYCLE_1) | instskip(NEXT) | instid1(SALU_CYCLE_1)
	s_sub_f32 s15, s15, s17
	s_fmamk_f32 s16, s13, 0x32a5705f, s16
	s_cselect_b32 vcc_lo, -1, 0
	s_cmp_ngt_f32 s13, 0x42b17218
	s_trunc_f32 s13, s11
	s_add_f32 s15, s15, s16
	s_cvt_i32_f32 s16, s17
	s_delay_alu instid0(SALU_CYCLE_2)
	v_s_exp_f32 s15, s15
	v_nop
	s_delay_alu instid0(TRANS32_DEP_1) | instid1(SALU_CYCLE_1)
	v_ldexp_f32 v1, s15, s16
	s_mul_f32 s15, s11, 0.5
	s_delay_alu instid0(VALU_DEP_1) | instskip(SKIP_3) | instid1(VALU_DEP_1)
	v_cndmask_b32_e32 v1, 0, v1, vcc_lo
	s_cselect_b32 vcc_lo, -1, 0
	s_cmp_eq_f32 s13, s11
	s_trunc_f32 s16, s15
	v_cndmask_b32_e32 v1, 0x7f800000, v1, vcc_lo
	s_cselect_b32 s17, -1, 0
	s_delay_alu instid0(SALU_CYCLE_1) | instskip(NEXT) | instid1(VALU_DEP_1)
	s_cmp_neq_f32 s16, s15
	v_fma_f32 v2, s12, v1, v1
	v_cmp_class_f32_e64 vcc_lo, v1, 0x204
	s_cselect_b32 s14, -1, 0
	s_delay_alu instid0(SALU_CYCLE_1)
	s_and_b32 s12, s17, s14
	v_cndmask_b32_e32 v1, v2, v1, vcc_lo
	s_and_b32 s14, s12, exec_lo
	s_cselect_b32 s14, s3, 1.0
	s_cmp_eq_f32 s13, s11
	v_cmp_class_f32_e64 s13, s3, 0x204
	v_bfi_b32 v1, 0x7fffffff, v1, s14
	s_cselect_b32 vcc_lo, -1, 0
	s_cmp_lt_f32 s3, 0
	s_delay_alu instid0(VALU_DEP_1) | instskip(SKIP_2) | instid1(VALU_DEP_1)
	v_cndmask_b32_e32 v2, 0x7fc00000, v1, vcc_lo
	s_cselect_b32 vcc_lo, -1, 0
	s_cmp_eq_f32 s3, 0
	v_cndmask_b32_e32 v1, v1, v2, vcc_lo
	s_cselect_b32 s14, -1, 0
	s_delay_alu instid0(SALU_CYCLE_1) | instskip(SKIP_2) | instid1(SALU_CYCLE_1)
	s_or_b32 vcc_lo, s14, s13
	s_cmp_lt_f32 s11, 0
	s_cselect_b32 s11, -1, 0
	s_xor_b32 s11, s11, s14
	s_delay_alu instid0(SALU_CYCLE_1)
	s_and_b32 s11, s11, exec_lo
	s_cselect_b32 s11, 0, 0x7f800000
	s_and_b32 s12, s12, exec_lo
	s_cselect_b32 s12, s3, 0
	s_cmp_o_f32 s3, s3
	v_mov_b32_e32 v2, s12
	s_delay_alu instid0(VALU_DEP_1) | instskip(NEXT) | instid1(VALU_DEP_1)
	v_bfi_b32 v2, 0x7fffffff, s11, v2
	v_cndmask_b32_e32 v1, v1, v2, vcc_lo
	s_cselect_b32 vcc_lo, -1, 0
	s_delay_alu instid0(VALU_DEP_1)
	v_cndmask_b32_e32 v1, 0x7fc00000, v1, vcc_lo
.LBB9_8:
	s_load_b256 s[12:19], s[0:1], 0x0
	s_wait_kmcnt 0x0
	s_cmp_lg_u64 s[16:17], 0
	s_cselect_b32 s3, -1, 0
	s_cmp_eq_u64 s[16:17], 0
	s_cbranch_scc1 .LBB9_12
; %bb.9:
	s_load_b32 s11, s[16:17], s2 offset:0x0 scale_offset
	s_branch .LBB9_13
.LBB9_10:
                                        ; implicit-def: $sgpr20_sgpr21
	s_branch .LBB9_2
.LBB9_11:
                                        ; implicit-def: $sgpr24_sgpr25
	s_branch .LBB9_5
.LBB9_12:
	s_mov_b32 s11, 0xff800000
.LBB9_13:
	s_bfe_u32 s0, ttmp6, 0x4000c
	s_and_b32 s1, ttmp6, 15
	s_add_co_i32 s0, s0, 1
	s_mul_i32 s22, s27, s22
	s_mul_i32 s0, ttmp9, s0
	v_mov_b32_e32 v8, 0
	s_add_co_i32 s1, s1, s0
	s_cmp_eq_u32 s28, 0
	s_cselect_b32 s0, ttmp9, s1
	s_add_co_i32 s1, s22, s2
	s_delay_alu instid0(SALU_CYCLE_1) | instskip(NEXT) | instid1(SALU_CYCLE_1)
	s_mul_i32 s1, s1, s26
	s_add_co_i32 s22, s1, s0
	s_mov_b32 s1, 0
	s_ashr_i32 s23, s22, 31
	s_delay_alu instid0(SALU_CYCLE_1)
	s_lshl_b64 s[26:27], s[22:23], 9
	s_cmp_eq_u64 s[14:15], 0
	s_add_nc_u64 s[12:13], s[12:13], s[26:27]
	global_load_b32 v2, v0, s[12:13] scale_offset
	s_wait_xcnt 0x0
	s_cselect_b32 s12, -1, 0
	s_cmp_lg_u64 s[14:15], 0
	s_cbranch_scc0 .LBB9_15
; %bb.14:
	s_mul_u64 s[0:1], s[4:5], s[0:1]
	s_mul_u64 s[4:5], s[20:21], s[6:7]
	;; [unrolled: 1-line block ×3, first 2 shown]
	s_add_nc_u64 s[0:1], s[4:5], s[0:1]
	s_delay_alu instid0(SALU_CYCLE_1) | instskip(NEXT) | instid1(SALU_CYCLE_1)
	s_add_nc_u64 s[0:1], s[0:1], s[6:7]
	s_lshr_b64 s[0:1], s[0:1], 1
	s_and_b32 s4, s12, exec_lo
	s_cselect_b32 s1, 0, s1
	s_cselect_b32 s0, 0, s0
	s_delay_alu instid0(SALU_CYCLE_1) | instskip(NEXT) | instid1(SALU_CYCLE_1)
	s_lshl_b64 s[0:1], s[0:1], 1
	s_add_nc_u64 s[0:1], s[14:15], s[0:1]
	global_load_u16 v3, v0, s[0:1] scale_offset
	s_wait_loadcnt 0x0
	v_cvt_f32_f16_e32 v3, v3
	s_delay_alu instid0(VALU_DEP_1)
	v_mul_f32_e32 v8, v1, v3
.LBB9_15:
	v_mbcnt_lo_u32_b32 v1, -1, 0
	s_wait_loadcnt 0x0
	s_delay_alu instid0(VALU_DEP_2) | instskip(SKIP_3) | instid1(VALU_DEP_2)
	v_fmac_f32_e32 v8, s10, v2
	s_wait_kmcnt 0x0
	v_max_num_f32_e64 v2, s11, s11
	v_xor_b32_e32 v3, 16, v1
	v_dual_max_num_f32 v4, v2, v8 :: v_dual_bitop2_b32 v5, 8, v1 bitop3:0x14
	s_delay_alu instid0(VALU_DEP_2) | instskip(SKIP_1) | instid1(VALU_DEP_3)
	v_cmp_gt_i32_e32 vcc_lo, 32, v3
	v_cndmask_b32_e32 v3, v1, v3, vcc_lo
	v_cmp_gt_i32_e32 vcc_lo, 32, v5
	s_delay_alu instid0(VALU_DEP_2) | instskip(SKIP_3) | instid1(VALU_DEP_1)
	v_lshlrev_b32_e32 v2, 2, v3
	ds_bpermute_b32 v3, v2, v4
	s_wait_dscnt 0x0
	v_dual_cndmask_b32 v5, v1, v5 :: v_dual_max_num_f32 v6, v3, v3
	v_dual_lshlrev_b32 v3, 2, v5 :: v_dual_max_num_f32 v5, v4, v6
	ds_bpermute_b32 v4, v3, v5
	s_wait_dscnt 0x0
	v_dual_max_num_f32 v7, v4, v4 :: v_dual_bitop2_b32 v6, 4, v1 bitop3:0x14
	s_delay_alu instid0(VALU_DEP_1) | instskip(SKIP_1) | instid1(VALU_DEP_1)
	v_cmp_gt_i32_e32 vcc_lo, 32, v6
	v_cndmask_b32_e32 v6, v1, v6, vcc_lo
	v_dual_lshlrev_b32 v4, 2, v6 :: v_dual_max_num_f32 v6, v5, v7
	v_xor_b32_e32 v7, 2, v1
	ds_bpermute_b32 v5, v4, v6
	v_cmp_gt_i32_e32 vcc_lo, 32, v7
	s_wait_dscnt 0x0
	v_max_num_f32_e32 v9, v5, v5
	s_delay_alu instid0(VALU_DEP_1) | instskip(NEXT) | instid1(VALU_DEP_1)
	v_dual_cndmask_b32 v7, v1, v7 :: v_dual_max_num_f32 v6, v6, v9
	v_lshlrev_b32_e32 v5, 2, v7
	ds_bpermute_b32 v7, v5, v6
	s_wait_dscnt 0x0
	v_dual_max_num_f32 v7, v7, v7 :: v_dual_bitop2_b32 v9, 1, v1 bitop3:0x14
	s_delay_alu instid0(VALU_DEP_1) | instskip(NEXT) | instid1(VALU_DEP_2)
	v_cmp_gt_i32_e32 vcc_lo, 32, v9
	v_dual_max_num_f32 v10, v6, v7 :: v_dual_cndmask_b32 v1, v1, v9
	v_dual_lshrrev_b32 v7, 3, v0 :: v_dual_bitop2_b32 v9, 31, v0 bitop3:0x40
	s_delay_alu instid0(VALU_DEP_2) | instskip(SKIP_1) | instid1(VALU_DEP_3)
	v_lshlrev_b32_e32 v6, 2, v1
	v_lshl_add_u32 v1, v0, 2, 0
	v_cmp_eq_u32_e32 vcc_lo, 0, v9
	ds_bpermute_b32 v11, v6, v10
	ds_store_b32 v1, v8 offset:128
	s_and_saveexec_b32 s0, vcc_lo
	s_delay_alu instid0(SALU_CYCLE_1)
	s_xor_b32 s0, exec_lo, s0
	s_cbranch_execz .LBB9_17
; %bb.16:
	s_wait_dscnt 0x1
	v_dual_max_num_f32 v8, v11, v11 :: v_dual_max_num_f32 v10, v10, v10
	s_delay_alu instid0(VALU_DEP_1)
	v_dual_max_num_f32 v8, v10, v8 :: v_dual_add_nc_u32 v10, 0, v7
	ds_store_b32 v10, v8
.LBB9_17:
	s_or_b32 exec_lo, exec_lo, s0
	v_cmp_gt_u32_e64 s0, 4, v9
	v_mov_b32_e32 v10, 0xff800000
	v_lshl_add_u32 v8, v9, 2, 0
	s_wait_dscnt 0x0
	s_barrier_signal -1
	s_barrier_wait -1
	s_and_saveexec_b32 s1, s0
; %bb.18:
	ds_load_b32 v10, v8
; %bb.19:
	s_or_b32 exec_lo, exec_lo, s1
	s_wait_dscnt 0x0
	ds_bpermute_b32 v9, v2, v10
	v_max_num_f32_e32 v10, v10, v10
	ds_load_b32 v11, v1 offset:128
	s_wait_dscnt 0x1
	v_max_num_f32_e32 v9, v9, v9
	s_delay_alu instid0(VALU_DEP_1) | instskip(SKIP_3) | instid1(VALU_DEP_1)
	v_max_num_f32_e32 v9, v10, v9
	ds_bpermute_b32 v10, v3, v9
	s_wait_dscnt 0x0
	v_max_num_f32_e32 v10, v10, v10
	v_max_num_f32_e32 v9, v9, v10
	ds_bpermute_b32 v10, v4, v9
	s_wait_dscnt 0x0
	v_max_num_f32_e32 v10, v10, v10
	s_delay_alu instid0(VALU_DEP_1) | instskip(SKIP_3) | instid1(VALU_DEP_1)
	v_max_num_f32_e32 v9, v9, v10
	ds_bpermute_b32 v10, v5, v9
	s_wait_dscnt 0x0
	v_max_num_f32_e32 v10, v10, v10
	v_max_num_f32_e32 v9, v9, v10
	ds_bpermute_b32 v10, v6, v9
	s_wait_dscnt 0x0
	v_max_num_f32_e32 v10, v10, v10
	s_delay_alu instid0(VALU_DEP_1) | instskip(NEXT) | instid1(VALU_DEP_1)
	v_max_num_f32_e32 v9, v9, v10
	v_sub_f32_e32 v10, v11, v9
	s_delay_alu instid0(VALU_DEP_1) | instskip(NEXT) | instid1(VALU_DEP_1)
	v_mul_f32_e32 v11, 0x3fb8aa3b, v10
	v_fma_f32 v12, 0x3fb8aa3b, v10, -v11
	v_rndne_f32_e32 v13, v11
	s_delay_alu instid0(VALU_DEP_1) | instskip(NEXT) | instid1(VALU_DEP_1)
	v_dual_fmamk_f32 v12, v10, 0x32a5705f, v12 :: v_dual_sub_f32 v11, v11, v13
	v_add_f32_e32 v11, v11, v12
	v_cvt_i32_f32_e32 v12, v13
	v_cmp_ngt_f32_e64 s1, 0xc2ce8ed0, v10
	s_delay_alu instid0(VALU_DEP_3) | instskip(SKIP_1) | instid1(TRANS32_DEP_1)
	v_exp_f32_e32 v11, v11
	v_nop
	v_ldexp_f32 v11, v11, v12
	s_delay_alu instid0(VALU_DEP_1) | instskip(SKIP_1) | instid1(VALU_DEP_1)
	v_cndmask_b32_e64 v11, 0, v11, s1
	v_cmp_nlt_f32_e64 s1, 0x42b17218, v10
	v_cndmask_b32_e64 v12, 0x7f800000, v11, s1
	ds_bpermute_b32 v10, v2, v12
	ds_store_b32 v1, v12 offset:128
	s_wait_dscnt 0x1
	v_add_f32_e32 v10, v12, v10
	ds_bpermute_b32 v11, v3, v10
	s_wait_dscnt 0x0
	v_add_f32_e32 v10, v10, v11
	ds_bpermute_b32 v11, v4, v10
	;; [unrolled: 3-line block ×4, first 2 shown]
	s_and_saveexec_b32 s1, vcc_lo
	s_cbranch_execz .LBB9_21
; %bb.20:
	s_wait_dscnt 0x0
	v_add_f32_e32 v10, v10, v11
	v_add_nc_u32_e32 v7, 0, v7
	ds_store_b32 v7, v10
.LBB9_21:
	s_or_b32 exec_lo, exec_lo, s1
	v_mov_b32_e32 v7, 0
	s_wait_dscnt 0x0
	s_barrier_signal -1
	s_barrier_wait -1
	s_and_saveexec_b32 s1, s0
; %bb.22:
	ds_load_b32 v7, v8
; %bb.23:
	s_or_b32 exec_lo, exec_lo, s1
	s_wait_dscnt 0x0
	ds_bpermute_b32 v2, v2, v7
	s_and_not1_b32 vcc_lo, exec_lo, s3
	s_lshl_b64 s[0:1], s[22:23], 7
	s_wait_dscnt 0x0
	v_add_f32_e32 v2, v7, v2
	ds_bpermute_b32 v3, v3, v2
	s_wait_dscnt 0x0
	v_add_f32_e32 v2, v2, v3
	ds_bpermute_b32 v3, v4, v2
	;; [unrolled: 3-line block ×4, first 2 shown]
	s_wait_dscnt 0x0
	v_add_f32_e32 v2, v2, v3
	s_cbranch_vccnz .LBB9_25
; %bb.24:
	s_load_b32 s2, s[16:17], s2 offset:0x0 scale_offset
	s_wait_kmcnt 0x0
	v_sub_f32_e32 v3, s2, v9
	s_delay_alu instid0(VALU_DEP_1) | instskip(NEXT) | instid1(VALU_DEP_1)
	v_mul_f32_e32 v4, 0x3fb8aa3b, v3
	v_fma_f32 v5, 0x3fb8aa3b, v3, -v4
	v_rndne_f32_e32 v6, v4
	s_delay_alu instid0(VALU_DEP_1) | instskip(SKIP_1) | instid1(VALU_DEP_4)
	v_sub_f32_e32 v4, v4, v6
	v_cmp_ngt_f32_e32 vcc_lo, 0xc2ce8ed0, v3
	v_fmamk_f32 v5, v3, 0x32a5705f, v5
	s_delay_alu instid0(VALU_DEP_1) | instskip(SKIP_1) | instid1(VALU_DEP_2)
	v_add_f32_e32 v4, v4, v5
	v_cvt_i32_f32_e32 v5, v6
	v_exp_f32_e32 v4, v4
	v_nop
	s_delay_alu instid0(TRANS32_DEP_1) | instskip(NEXT) | instid1(VALU_DEP_1)
	v_ldexp_f32 v4, v4, v5
	v_cndmask_b32_e32 v4, 0, v4, vcc_lo
	v_cmp_nlt_f32_e32 vcc_lo, 0x42b17218, v3
	s_delay_alu instid0(VALU_DEP_2) | instskip(NEXT) | instid1(VALU_DEP_1)
	v_cndmask_b32_e32 v3, 0x7f800000, v4, vcc_lo
	v_add_f32_e32 v2, v2, v3
.LBB9_25:
	s_delay_alu instid0(VALU_DEP_1) | instskip(SKIP_4) | instid1(SALU_CYCLE_1)
	v_div_scale_f32 v3, null, v2, v2, 1.0
	v_div_scale_f32 v6, vcc_lo, 1.0, v2, 1.0
	ds_load_b32 v1, v1 offset:128
	v_rcp_f32_e32 v4, v3
	s_lshl_b64 s[0:1], s[0:1], 2
	s_add_nc_u64 s[0:1], s[18:19], s[0:1]
	v_nop
	s_delay_alu instid0(TRANS32_DEP_1) | instskip(NEXT) | instid1(VALU_DEP_1)
	v_fma_f32 v5, -v3, v4, 1.0
	v_fmac_f32_e32 v4, v5, v4
	s_delay_alu instid0(VALU_DEP_1) | instskip(NEXT) | instid1(VALU_DEP_1)
	v_mul_f32_e32 v5, v6, v4
	v_fma_f32 v7, -v3, v5, v6
	s_delay_alu instid0(VALU_DEP_1) | instskip(NEXT) | instid1(VALU_DEP_1)
	v_fmac_f32_e32 v5, v7, v4
	v_fma_f32 v3, -v3, v5, v6
	s_delay_alu instid0(VALU_DEP_1) | instskip(NEXT) | instid1(VALU_DEP_1)
	v_div_fmas_f32 v3, v3, v4, v5
	v_div_fixup_f32 v2, v3, v2, 1.0
	s_wait_dscnt 0x0
	s_delay_alu instid0(VALU_DEP_1)
	v_mul_f32_e32 v1, v2, v1
	global_store_b32 v0, v1, s[0:1] scale_offset
	s_endpgm
	.section	.rodata,"a",@progbits
	.p2align	6, 0x0
	.amdhsa_kernel _ZL12soft_max_f32ILb1ELi128ELi128E6__halfEvPKfPKT2_S2_Pf15soft_max_params
		.amdhsa_group_segment_fixed_size 0
		.amdhsa_private_segment_fixed_size 0
		.amdhsa_kernarg_size 416
		.amdhsa_user_sgpr_count 2
		.amdhsa_user_sgpr_dispatch_ptr 0
		.amdhsa_user_sgpr_queue_ptr 0
		.amdhsa_user_sgpr_kernarg_segment_ptr 1
		.amdhsa_user_sgpr_dispatch_id 0
		.amdhsa_user_sgpr_kernarg_preload_length 0
		.amdhsa_user_sgpr_kernarg_preload_offset 0
		.amdhsa_user_sgpr_private_segment_size 0
		.amdhsa_wavefront_size32 1
		.amdhsa_uses_dynamic_stack 0
		.amdhsa_enable_private_segment 0
		.amdhsa_system_sgpr_workgroup_id_x 1
		.amdhsa_system_sgpr_workgroup_id_y 1
		.amdhsa_system_sgpr_workgroup_id_z 1
		.amdhsa_system_sgpr_workgroup_info 0
		.amdhsa_system_vgpr_workitem_id 0
		.amdhsa_next_free_vgpr 18
		.amdhsa_next_free_sgpr 36
		.amdhsa_named_barrier_count 0
		.amdhsa_reserve_vcc 1
		.amdhsa_float_round_mode_32 0
		.amdhsa_float_round_mode_16_64 0
		.amdhsa_float_denorm_mode_32 3
		.amdhsa_float_denorm_mode_16_64 3
		.amdhsa_fp16_overflow 0
		.amdhsa_memory_ordered 1
		.amdhsa_forward_progress 1
		.amdhsa_inst_pref_size 35
		.amdhsa_round_robin_scheduling 0
		.amdhsa_exception_fp_ieee_invalid_op 0
		.amdhsa_exception_fp_denorm_src 0
		.amdhsa_exception_fp_ieee_div_zero 0
		.amdhsa_exception_fp_ieee_overflow 0
		.amdhsa_exception_fp_ieee_underflow 0
		.amdhsa_exception_fp_ieee_inexact 0
		.amdhsa_exception_int_div_zero 0
	.end_amdhsa_kernel
	.section	.text._ZL12soft_max_f32ILb1ELi128ELi128E6__halfEvPKfPKT2_S2_Pf15soft_max_params,"axG",@progbits,_ZL12soft_max_f32ILb1ELi128ELi128E6__halfEvPKfPKT2_S2_Pf15soft_max_params,comdat
.Lfunc_end9:
	.size	_ZL12soft_max_f32ILb1ELi128ELi128E6__halfEvPKfPKT2_S2_Pf15soft_max_params, .Lfunc_end9-_ZL12soft_max_f32ILb1ELi128ELi128E6__halfEvPKfPKT2_S2_Pf15soft_max_params
                                        ; -- End function
	.set _ZL12soft_max_f32ILb1ELi128ELi128E6__halfEvPKfPKT2_S2_Pf15soft_max_params.num_vgpr, 18
	.set _ZL12soft_max_f32ILb1ELi128ELi128E6__halfEvPKfPKT2_S2_Pf15soft_max_params.num_agpr, 0
	.set _ZL12soft_max_f32ILb1ELi128ELi128E6__halfEvPKfPKT2_S2_Pf15soft_max_params.numbered_sgpr, 36
	.set _ZL12soft_max_f32ILb1ELi128ELi128E6__halfEvPKfPKT2_S2_Pf15soft_max_params.num_named_barrier, 0
	.set _ZL12soft_max_f32ILb1ELi128ELi128E6__halfEvPKfPKT2_S2_Pf15soft_max_params.private_seg_size, 0
	.set _ZL12soft_max_f32ILb1ELi128ELi128E6__halfEvPKfPKT2_S2_Pf15soft_max_params.uses_vcc, 1
	.set _ZL12soft_max_f32ILb1ELi128ELi128E6__halfEvPKfPKT2_S2_Pf15soft_max_params.uses_flat_scratch, 0
	.set _ZL12soft_max_f32ILb1ELi128ELi128E6__halfEvPKfPKT2_S2_Pf15soft_max_params.has_dyn_sized_stack, 0
	.set _ZL12soft_max_f32ILb1ELi128ELi128E6__halfEvPKfPKT2_S2_Pf15soft_max_params.has_recursion, 0
	.set _ZL12soft_max_f32ILb1ELi128ELi128E6__halfEvPKfPKT2_S2_Pf15soft_max_params.has_indirect_call, 0
	.section	.AMDGPU.csdata,"",@progbits
; Kernel info:
; codeLenInByte = 4384
; TotalNumSgprs: 38
; NumVgprs: 18
; ScratchSize: 0
; MemoryBound: 0
; FloatMode: 240
; IeeeMode: 1
; LDSByteSize: 0 bytes/workgroup (compile time only)
; SGPRBlocks: 0
; VGPRBlocks: 1
; NumSGPRsForWavesPerEU: 38
; NumVGPRsForWavesPerEU: 18
; NamedBarCnt: 0
; Occupancy: 16
; WaveLimiterHint : 1
; COMPUTE_PGM_RSRC2:SCRATCH_EN: 0
; COMPUTE_PGM_RSRC2:USER_SGPR: 2
; COMPUTE_PGM_RSRC2:TRAP_HANDLER: 0
; COMPUTE_PGM_RSRC2:TGID_X_EN: 1
; COMPUTE_PGM_RSRC2:TGID_Y_EN: 1
; COMPUTE_PGM_RSRC2:TGID_Z_EN: 1
; COMPUTE_PGM_RSRC2:TIDIG_COMP_CNT: 0
	.section	.text._ZL12soft_max_f32ILb1ELi64ELi64E6__halfEvPKfPKT2_S2_Pf15soft_max_params,"axG",@progbits,_ZL12soft_max_f32ILb1ELi64ELi64E6__halfEvPKfPKT2_S2_Pf15soft_max_params,comdat
	.globl	_ZL12soft_max_f32ILb1ELi64ELi64E6__halfEvPKfPKT2_S2_Pf15soft_max_params ; -- Begin function _ZL12soft_max_f32ILb1ELi64ELi64E6__halfEvPKfPKT2_S2_Pf15soft_max_params
	.p2align	8
	.type	_ZL12soft_max_f32ILb1ELi64ELi64E6__halfEvPKfPKT2_S2_Pf15soft_max_params,@function
_ZL12soft_max_f32ILb1ELi64ELi64E6__halfEvPKfPKT2_S2_Pf15soft_max_params: ; @_ZL12soft_max_f32ILb1ELi64ELi64E6__halfEvPKfPKT2_S2_Pf15soft_max_params
; %bb.0:
	s_clause 0x1
	s_load_b256 s[4:11], s[0:1], 0x68
	s_load_b64 s[12:13], s[0:1], 0x88
	s_bfe_u32 s2, ttmp6, 0x40010
	s_and_b32 s3, ttmp7, 0xffff
	s_add_co_i32 s2, s2, 1
	s_bfe_u32 s14, ttmp6, 0x40004
	s_mul_i32 s2, s3, s2
	s_getreg_b32 s28, hwreg(HW_REG_IB_STS2, 6, 4)
	s_add_co_i32 s14, s14, s2
	s_cmp_eq_u32 s28, 0
	s_cselect_b32 s2, s3, s14
	s_mov_b32 s3, 0
	s_wait_kmcnt 0x0
	s_and_b64 s[14:15], s[10:11], 0xffffffff00000000
	s_delay_alu instid0(SALU_CYCLE_1)
	s_cmp_lg_u64 s[14:15], 0
	s_cbranch_scc0 .LBB10_10
; %bb.1:
	s_ashr_i32 s14, s11, 31
	s_mov_b32 s21, s3
	s_mov_b32 s15, s14
	;; [unrolled: 1-line block ×3, first 2 shown]
	s_add_nc_u64 s[16:17], s[10:11], s[14:15]
	s_delay_alu instid0(SALU_CYCLE_1) | instskip(NEXT) | instid1(SALU_CYCLE_1)
	s_xor_b64 s[14:15], s[16:17], s[14:15]
	s_cvt_f32_u32 s11, s14
	s_cvt_f32_u32 s16, s15
	s_sub_nc_u64 s[18:19], 0, s[14:15]
	s_delay_alu instid0(SALU_CYCLE_2) | instskip(NEXT) | instid1(SALU_CYCLE_3)
	s_fmamk_f32 s11, s16, 0x4f800000, s11
	v_s_rcp_f32 s11, s11
	s_delay_alu instid0(TRANS32_DEP_1) | instskip(NEXT) | instid1(SALU_CYCLE_3)
	s_mul_f32 s11, s11, 0x5f7ffffc
	s_mul_f32 s16, s11, 0x2f800000
	s_delay_alu instid0(SALU_CYCLE_3) | instskip(NEXT) | instid1(SALU_CYCLE_3)
	s_trunc_f32 s16, s16
	s_fmamk_f32 s11, s16, 0xcf800000, s11
	s_cvt_u32_f32 s17, s16
	s_delay_alu instid0(SALU_CYCLE_2) | instskip(NEXT) | instid1(SALU_CYCLE_3)
	s_cvt_u32_f32 s16, s11
	s_mul_u64 s[22:23], s[18:19], s[16:17]
	s_delay_alu instid0(SALU_CYCLE_1)
	s_mul_hi_u32 s27, s16, s23
	s_mul_i32 s26, s16, s23
	s_mul_hi_u32 s20, s16, s22
	s_mul_i32 s24, s17, s22
	s_add_nc_u64 s[20:21], s[20:21], s[26:27]
	s_mul_hi_u32 s11, s17, s22
	s_mul_hi_u32 s29, s17, s23
	s_add_co_u32 s20, s20, s24
	s_add_co_ci_u32 s24, s21, s11
	s_mul_i32 s22, s17, s23
	s_add_co_ci_u32 s23, s29, 0
	s_delay_alu instid0(SALU_CYCLE_1) | instskip(SKIP_3) | instid1(SALU_CYCLE_1)
	s_add_nc_u64 s[20:21], s[24:25], s[22:23]
	s_mov_b32 s23, s3
	s_add_co_u32 s16, s16, s20
	s_cselect_b32 s11, -1, 0
	s_cmp_lg_u32 s11, 0
	s_add_co_ci_u32 s17, s17, s21
	s_mov_b32 s21, s3
	s_mul_u64 s[18:19], s[18:19], s[16:17]
	s_delay_alu instid0(SALU_CYCLE_1)
	s_mul_hi_u32 s25, s16, s19
	s_mul_i32 s24, s16, s19
	s_mul_hi_u32 s20, s16, s18
	s_mul_i32 s22, s17, s18
	s_add_nc_u64 s[20:21], s[20:21], s[24:25]
	s_mul_hi_u32 s11, s17, s18
	s_mul_hi_u32 s26, s17, s19
	s_mul_i32 s18, s17, s19
	s_add_co_u32 s19, s20, s22
	s_add_co_ci_u32 s22, s21, s11
	s_add_co_ci_u32 s19, s26, 0
	s_add_nc_u64 s[20:21], s[2:3], 0
	s_add_nc_u64 s[18:19], s[22:23], s[18:19]
	s_delay_alu instid0(SALU_CYCLE_1) | instskip(SKIP_1) | instid1(SALU_CYCLE_1)
	s_add_co_u32 s11, s16, s18
	s_cselect_b32 s16, -1, 0
	s_cmp_lg_u32 s16, 0
	s_add_co_ci_u32 s18, s17, s19
	s_xor_b64 s[16:17], s[20:21], 0
	s_mov_b32 s19, s3
	s_mul_hi_u32 s21, s16, s18
	s_mul_i32 s20, s16, s18
	s_mul_hi_u32 s22, s16, s11
	s_mul_hi_u32 s25, s17, s11
	s_mul_i32 s11, s17, s11
	s_add_nc_u64 s[20:21], s[22:23], s[20:21]
	s_mul_hi_u32 s24, s17, s18
	s_add_co_u32 s11, s20, s11
	s_mul_i32 s22, s17, s18
	s_add_co_ci_u32 s18, s21, s25
	s_add_co_ci_u32 s23, s24, 0
	s_delay_alu instid0(SALU_CYCLE_1) | instskip(NEXT) | instid1(SALU_CYCLE_1)
	s_add_nc_u64 s[18:19], s[18:19], s[22:23]
	s_and_b64 s[20:21], s[18:19], 0xffffffff00000000
	s_delay_alu instid0(SALU_CYCLE_1) | instskip(NEXT) | instid1(SALU_CYCLE_1)
	s_or_b32 s20, s20, s18
	s_mul_u64 s[18:19], s[14:15], s[20:21]
	s_delay_alu instid0(SALU_CYCLE_1)
	s_sub_co_u32 s11, s16, s18
	s_cselect_b32 s16, -1, 0
	s_sub_co_i32 s18, s17, s19
	s_cmp_lg_u32 s16, 0
	s_sub_co_ci_u32 s18, s18, s15
	s_sub_co_u32 s20, s11, s14
	s_cselect_b32 s21, -1, 0
	s_delay_alu instid0(SALU_CYCLE_1) | instskip(SKIP_1) | instid1(SALU_CYCLE_1)
	s_cmp_lg_u32 s21, 0
	s_sub_co_ci_u32 s22, s18, 0
	s_cmp_ge_u32 s22, s15
	s_cselect_b32 s23, -1, 0
	s_cmp_ge_u32 s20, s14
	s_cselect_b32 s24, -1, 0
	s_cmp_eq_u32 s22, s15
	s_cselect_b32 s23, s24, s23
	s_cmp_lg_u32 s21, 0
	s_sub_co_ci_u32 s18, s18, s15
	s_sub_co_u32 s21, s20, s14
	s_cselect_b32 s24, -1, 0
	s_delay_alu instid0(SALU_CYCLE_1)
	s_cmp_lg_u32 s24, 0
	s_sub_co_ci_u32 s18, s18, 0
	s_cmp_lg_u32 s23, 0
	s_cselect_b32 s20, s21, s20
	s_cselect_b32 s18, s18, s22
	s_cmp_lg_u32 s16, 0
	s_sub_co_ci_u32 s16, s17, s19
	s_delay_alu instid0(SALU_CYCLE_1)
	s_cmp_ge_u32 s16, s15
	s_cselect_b32 s17, -1, 0
	s_cmp_ge_u32 s11, s14
	s_cselect_b32 s14, -1, 0
	s_cmp_eq_u32 s16, s15
	s_cselect_b32 s14, s14, s17
	s_delay_alu instid0(SALU_CYCLE_1) | instskip(SKIP_2) | instid1(SALU_CYCLE_1)
	s_cmp_lg_u32 s14, 0
	s_cselect_b32 s15, s18, s16
	s_cselect_b32 s14, s20, s11
	s_xor_b64 s[14:15], s[14:15], 0
	s_delay_alu instid0(SALU_CYCLE_1)
	s_sub_nc_u64 s[20:21], s[14:15], 0
	s_and_not1_b32 vcc_lo, exec_lo, s3
	s_cbranch_vccnz .LBB10_3
.LBB10_2:
	v_cvt_f32_u32_e32 v1, s10
	s_sub_co_i32 s11, 0, s10
	s_mov_b32 s21, 0
	s_delay_alu instid0(VALU_DEP_1) | instskip(SKIP_1) | instid1(TRANS32_DEP_1)
	v_rcp_iflag_f32_e32 v1, v1
	v_nop
	v_mul_f32_e32 v1, 0x4f7ffffe, v1
	s_delay_alu instid0(VALU_DEP_1) | instskip(NEXT) | instid1(VALU_DEP_1)
	v_cvt_u32_f32_e32 v1, v1
	v_readfirstlane_b32 s3, v1
	s_mul_i32 s11, s11, s3
	s_delay_alu instid0(SALU_CYCLE_1) | instskip(NEXT) | instid1(SALU_CYCLE_1)
	s_mul_hi_u32 s11, s3, s11
	s_add_co_i32 s3, s3, s11
	s_delay_alu instid0(SALU_CYCLE_1) | instskip(NEXT) | instid1(SALU_CYCLE_1)
	s_mul_hi_u32 s3, s2, s3
	s_mul_i32 s3, s3, s10
	s_delay_alu instid0(SALU_CYCLE_1) | instskip(NEXT) | instid1(SALU_CYCLE_1)
	s_sub_co_i32 s3, s2, s3
	s_sub_co_i32 s11, s3, s10
	s_cmp_ge_u32 s3, s10
	s_cselect_b32 s3, s11, s3
	s_delay_alu instid0(SALU_CYCLE_1)
	s_sub_co_i32 s11, s3, s10
	s_cmp_ge_u32 s3, s10
	s_cselect_b32 s20, s11, s3
.LBB10_3:
	s_load_b64 s[10:11], s[0:1], 0x90
	s_bfe_u32 s3, ttmp6, 0x40014
	s_lshr_b32 s14, ttmp7, 16
	s_add_co_i32 s3, s3, 1
	s_bfe_u32 s15, ttmp6, 0x40008
	s_mul_i32 s3, s14, s3
	s_mov_b32 s23, 0
	s_add_co_i32 s15, s15, s3
	s_cmp_eq_u32 s28, 0
	s_cselect_b32 s22, s14, s15
	s_and_b64 s[14:15], s[12:13], 0xffffffff00000000
	s_delay_alu instid0(SALU_CYCLE_1)
	s_cmp_lg_u64 s[14:15], 0
	s_cbranch_scc0 .LBB10_11
; %bb.4:
	s_ashr_i32 s14, s13, 31
	s_mov_b32 s25, s23
	s_mov_b32 s15, s14
	;; [unrolled: 1-line block ×3, first 2 shown]
	s_add_nc_u64 s[16:17], s[12:13], s[14:15]
	s_delay_alu instid0(SALU_CYCLE_1) | instskip(NEXT) | instid1(SALU_CYCLE_1)
	s_xor_b64 s[14:15], s[16:17], s[14:15]
	s_cvt_f32_u32 s3, s14
	s_cvt_f32_u32 s13, s15
	s_sub_nc_u64 s[18:19], 0, s[14:15]
	s_delay_alu instid0(SALU_CYCLE_2) | instskip(NEXT) | instid1(SALU_CYCLE_3)
	s_fmamk_f32 s3, s13, 0x4f800000, s3
	v_s_rcp_f32 s3, s3
	s_delay_alu instid0(TRANS32_DEP_1) | instskip(NEXT) | instid1(SALU_CYCLE_3)
	s_mul_f32 s3, s3, 0x5f7ffffc
	s_mul_f32 s13, s3, 0x2f800000
	s_delay_alu instid0(SALU_CYCLE_3) | instskip(NEXT) | instid1(SALU_CYCLE_3)
	s_trunc_f32 s13, s13
	s_fmamk_f32 s3, s13, 0xcf800000, s3
	s_cvt_u32_f32 s17, s13
	s_delay_alu instid0(SALU_CYCLE_2) | instskip(NEXT) | instid1(SALU_CYCLE_3)
	s_cvt_u32_f32 s16, s3
	s_mul_u64 s[26:27], s[18:19], s[16:17]
	s_delay_alu instid0(SALU_CYCLE_1)
	s_mul_hi_u32 s35, s16, s27
	s_mul_i32 s34, s16, s27
	s_mul_hi_u32 s24, s16, s26
	s_mul_i32 s13, s17, s26
	s_add_nc_u64 s[24:25], s[24:25], s[34:35]
	s_mul_hi_u32 s3, s17, s26
	s_mul_hi_u32 s29, s17, s27
	s_add_co_u32 s13, s24, s13
	s_add_co_ci_u32 s30, s25, s3
	s_mul_i32 s26, s17, s27
	s_add_co_ci_u32 s27, s29, 0
	s_delay_alu instid0(SALU_CYCLE_1) | instskip(SKIP_3) | instid1(SALU_CYCLE_1)
	s_add_nc_u64 s[24:25], s[30:31], s[26:27]
	s_mov_b32 s27, s23
	s_add_co_u32 s16, s16, s24
	s_cselect_b32 s3, -1, 0
	s_cmp_lg_u32 s3, 0
	s_add_co_ci_u32 s17, s17, s25
	s_mov_b32 s25, s23
	s_mul_u64 s[18:19], s[18:19], s[16:17]
	s_delay_alu instid0(SALU_CYCLE_1)
	s_mul_hi_u32 s31, s16, s19
	s_mul_i32 s30, s16, s19
	s_mul_hi_u32 s24, s16, s18
	s_mul_i32 s13, s17, s18
	s_add_nc_u64 s[24:25], s[24:25], s[30:31]
	s_mul_hi_u32 s3, s17, s18
	s_mul_hi_u32 s29, s17, s19
	s_add_co_u32 s13, s24, s13
	s_add_co_ci_u32 s26, s25, s3
	s_mul_i32 s18, s17, s19
	s_add_co_ci_u32 s19, s29, 0
	s_add_nc_u64 s[24:25], s[22:23], 0
	s_add_nc_u64 s[18:19], s[26:27], s[18:19]
	s_delay_alu instid0(SALU_CYCLE_1) | instskip(SKIP_1) | instid1(SALU_CYCLE_1)
	s_add_co_u32 s3, s16, s18
	s_cselect_b32 s13, -1, 0
	s_cmp_lg_u32 s13, 0
	s_add_co_ci_u32 s13, s17, s19
	s_xor_b64 s[16:17], s[24:25], 0
	s_mov_b32 s19, s23
	s_mul_hi_u32 s25, s16, s13
	s_mul_i32 s24, s16, s13
	s_mul_hi_u32 s26, s16, s3
	s_mul_hi_u32 s18, s17, s3
	s_mul_i32 s3, s17, s3
	s_add_nc_u64 s[24:25], s[26:27], s[24:25]
	s_mul_hi_u32 s29, s17, s13
	s_add_co_u32 s3, s24, s3
	s_add_co_ci_u32 s18, s25, s18
	s_mul_i32 s26, s17, s13
	s_add_co_ci_u32 s27, s29, 0
	s_delay_alu instid0(SALU_CYCLE_1) | instskip(NEXT) | instid1(SALU_CYCLE_1)
	s_add_nc_u64 s[18:19], s[18:19], s[26:27]
	s_and_b64 s[24:25], s[18:19], 0xffffffff00000000
	s_delay_alu instid0(SALU_CYCLE_1) | instskip(NEXT) | instid1(SALU_CYCLE_1)
	s_or_b32 s24, s24, s18
	s_mul_u64 s[18:19], s[14:15], s[24:25]
	s_delay_alu instid0(SALU_CYCLE_1)
	s_sub_co_u32 s3, s16, s18
	s_cselect_b32 s13, -1, 0
	s_sub_co_i32 s16, s17, s19
	s_cmp_lg_u32 s13, 0
	s_sub_co_ci_u32 s16, s16, s15
	s_sub_co_u32 s18, s3, s14
	s_cselect_b32 s24, -1, 0
	s_delay_alu instid0(SALU_CYCLE_1) | instskip(SKIP_1) | instid1(SALU_CYCLE_1)
	s_cmp_lg_u32 s24, 0
	s_sub_co_ci_u32 s25, s16, 0
	s_cmp_ge_u32 s25, s15
	s_cselect_b32 s26, -1, 0
	s_cmp_ge_u32 s18, s14
	s_cselect_b32 s27, -1, 0
	s_cmp_eq_u32 s25, s15
	s_cselect_b32 s26, s27, s26
	s_cmp_lg_u32 s24, 0
	s_sub_co_ci_u32 s16, s16, s15
	s_sub_co_u32 s24, s18, s14
	s_cselect_b32 s27, -1, 0
	s_delay_alu instid0(SALU_CYCLE_1)
	s_cmp_lg_u32 s27, 0
	s_sub_co_ci_u32 s16, s16, 0
	s_cmp_lg_u32 s26, 0
	s_cselect_b32 s18, s24, s18
	s_cselect_b32 s16, s16, s25
	s_cmp_lg_u32 s13, 0
	s_sub_co_ci_u32 s13, s17, s19
	s_delay_alu instid0(SALU_CYCLE_1)
	s_cmp_ge_u32 s13, s15
	s_cselect_b32 s17, -1, 0
	s_cmp_ge_u32 s3, s14
	s_cselect_b32 s14, -1, 0
	s_cmp_eq_u32 s13, s15
	s_cselect_b32 s14, s14, s17
	s_delay_alu instid0(SALU_CYCLE_1) | instskip(SKIP_2) | instid1(SALU_CYCLE_1)
	s_cmp_lg_u32 s14, 0
	s_cselect_b32 s15, s16, s13
	s_cselect_b32 s14, s18, s3
	s_xor_b64 s[14:15], s[14:15], 0
	s_delay_alu instid0(SALU_CYCLE_1)
	s_sub_nc_u64 s[24:25], s[14:15], 0
	s_and_not1_b32 vcc_lo, exec_lo, s23
	s_cbranch_vccnz .LBB10_6
.LBB10_5:
	v_cvt_f32_u32_e32 v1, s12
	s_sub_co_i32 s13, 0, s12
	s_mov_b32 s25, 0
	s_delay_alu instid0(VALU_DEP_1) | instskip(SKIP_1) | instid1(TRANS32_DEP_1)
	v_rcp_iflag_f32_e32 v1, v1
	v_nop
	v_mul_f32_e32 v1, 0x4f7ffffe, v1
	s_delay_alu instid0(VALU_DEP_1) | instskip(NEXT) | instid1(VALU_DEP_1)
	v_cvt_u32_f32_e32 v1, v1
	v_readfirstlane_b32 s3, v1
	s_mul_i32 s13, s13, s3
	s_delay_alu instid0(SALU_CYCLE_1) | instskip(NEXT) | instid1(SALU_CYCLE_1)
	s_mul_hi_u32 s13, s3, s13
	s_add_co_i32 s3, s3, s13
	s_delay_alu instid0(SALU_CYCLE_1) | instskip(NEXT) | instid1(SALU_CYCLE_1)
	s_mul_hi_u32 s3, s22, s3
	s_mul_i32 s3, s3, s12
	s_delay_alu instid0(SALU_CYCLE_1) | instskip(NEXT) | instid1(SALU_CYCLE_1)
	s_sub_co_i32 s3, s22, s3
	s_sub_co_i32 s13, s3, s12
	s_cmp_ge_u32 s3, s12
	s_cselect_b32 s3, s13, s3
	s_delay_alu instid0(SALU_CYCLE_1)
	s_sub_co_i32 s13, s3, s12
	s_cmp_ge_u32 s3, s12
	s_cselect_b32 s24, s13, s3
.LBB10_6:
	s_load_b64 s[26:27], s[0:1], 0xa0
	v_mov_b32_e32 v1, 1.0
	s_wait_kmcnt 0x0
	s_cmp_le_f32 s11, 0
	s_cbranch_scc1 .LBB10_8
; %bb.7:
	s_clause 0x1
	s_load_b32 s3, s[0:1], 0x28
	s_load_b64 s[12:13], s[0:1], 0x98
	s_add_co_i32 s14, s2, 1
	s_wait_kmcnt 0x0
	s_sub_co_i32 s11, s2, s3
	s_delay_alu instid0(SALU_CYCLE_1) | instskip(NEXT) | instid1(SALU_CYCLE_1)
	s_lshl_b32 s11, s11, 1
	s_or_b32 s11, s11, 1
	s_cmp_lt_u32 s2, s3
	s_cselect_b32 s3, s14, s11
	s_cselect_b32 s12, s12, s13
	s_cvt_f32_i32 s3, s3
	s_cmp_neq_f32 s12, 1.0
	s_delay_alu instid0(SALU_CYCLE_2) | instskip(NEXT) | instid1(SALU_CYCLE_1)
	s_cselect_b32 s11, s3, 1.0
	s_cmp_neq_f32 s11, 0
	s_cselect_b32 s3, s12, 1.0
	s_delay_alu instid0(SALU_CYCLE_1) | instskip(NEXT) | instid1(VALU_DEP_1)
	v_cvt_f64_f32_e64 v[2:3], |s3|
	v_frexp_exp_i32_f64_e32 v1, v[2:3]
	v_frexp_mant_f32_e64 v2, |s3|
	s_delay_alu instid0(VALU_DEP_1) | instskip(SKIP_2) | instid1(SALU_CYCLE_1)
	v_readfirstlane_b32 s12, v2
	s_cmp_lt_f32 s12, 0x3f2aaaab
	s_cselect_b32 vcc_lo, -1, 0
	s_and_b32 s13, vcc_lo, exec_lo
	s_cselect_b32 s13, 2.0, 1.0
	s_delay_alu instid0(SALU_CYCLE_1) | instskip(NEXT) | instid1(SALU_CYCLE_3)
	s_mul_f32 s12, s12, s13
	s_add_f32 s13, s12, 1.0
	s_add_f32 s15, s12, -1.0
	s_delay_alu instid0(SALU_CYCLE_2) | instskip(SKIP_2) | instid1(SALU_CYCLE_2)
	v_s_rcp_f32 s14, s13
	s_add_f32 s18, s13, -1.0
	v_subrev_co_ci_u32_e64 v1, null, 0, v1, vcc_lo
	s_sub_f32 s12, s12, s18
	s_delay_alu instid0(TRANS32_DEP_1) | instskip(SKIP_1) | instid1(SALU_CYCLE_2)
	s_mul_f32 s16, s15, s14
	v_cvt_f32_i32_e32 v1, v1
	s_mul_f32 s17, s13, s16
	s_delay_alu instid0(SALU_CYCLE_3) | instskip(SKIP_1) | instid1(SALU_CYCLE_1)
	v_dual_mov_b32 v3, s15 :: v_dual_mov_b32 v4, s17
	s_xor_b32 s19, s17, 0x80000000
	s_fmac_f32 s19, s16, s13
	s_delay_alu instid0(SALU_CYCLE_3) | instskip(NEXT) | instid1(SALU_CYCLE_3)
	s_fmac_f32 s19, s16, s12
	s_add_f32 s12, s17, s19
	v_mov_b32_e32 v6, s19
	s_mov_b32 s17, 0x3e76c4e1
	s_delay_alu instid0(SALU_CYCLE_1) | instskip(SKIP_1) | instid1(SALU_CYCLE_2)
	s_sub_f32 s13, s15, s12
	v_dual_mov_b32 v2, s12 :: v_dual_mov_b32 v7, s12
	v_mov_b32_e32 v5, s13
	s_delay_alu instid0(VALU_DEP_1) | instskip(NEXT) | instid1(VALU_DEP_1)
	v_pk_add_f32 v[2:3], v[2:3], v[4:5] neg_lo:[0,1] neg_hi:[0,1]
	v_pk_add_f32 v[2:3], v[2:3], v[6:7] neg_lo:[0,1] neg_hi:[0,1]
	s_delay_alu instid0(VALU_DEP_1) | instskip(NEXT) | instid1(VALU_DEP_2)
	v_readfirstlane_b32 s12, v3
	v_readfirstlane_b32 s15, v2
	s_add_f32 s12, s15, s12
	s_delay_alu instid0(SALU_CYCLE_3) | instskip(NEXT) | instid1(SALU_CYCLE_3)
	s_add_f32 s12, s13, s12
	s_mul_f32 s13, s14, s12
	s_delay_alu instid0(SALU_CYCLE_3) | instskip(NEXT) | instid1(SALU_CYCLE_3)
	s_add_f32 s12, s16, s13
	s_sub_f32 s14, s12, s16
	s_mul_f32 s15, s12, s12
	s_delay_alu instid0(SALU_CYCLE_2) | instskip(NEXT) | instid1(SALU_CYCLE_2)
	s_sub_f32 s16, s13, s14
	s_xor_b32 s13, s15, 0x80000000
	s_delay_alu instid0(SALU_CYCLE_1) | instskip(NEXT) | instid1(SALU_CYCLE_1)
	s_fmac_f32 s13, s12, s12
	s_add_f32 s14, s16, s16
	s_delay_alu instid0(SALU_CYCLE_3) | instskip(NEXT) | instid1(SALU_CYCLE_3)
	s_fmac_f32 s13, s12, s14
	s_add_f32 s14, s15, s13
	s_delay_alu instid0(SALU_CYCLE_3) | instskip(SKIP_1) | instid1(SALU_CYCLE_2)
	s_fmaak_f32 s17, s14, s17, 0x3e91f4c4
	s_sub_f32 s15, s14, s15
	s_fmaak_f32 s17, s14, s17, 0x3ecccdef
	s_delay_alu instid0(SALU_CYCLE_2) | instskip(NEXT) | instid1(SALU_CYCLE_2)
	s_sub_f32 s23, s13, s15
	s_mul_f32 s18, s14, s17
	s_delay_alu instid0(SALU_CYCLE_3) | instskip(NEXT) | instid1(SALU_CYCLE_1)
	s_xor_b32 s19, s18, 0x80000000
	s_fmac_f32 s19, s14, s17
	s_delay_alu instid0(SALU_CYCLE_3) | instskip(NEXT) | instid1(SALU_CYCLE_3)
	s_fmac_f32 s19, s23, s17
	s_add_f32 s15, s18, s19
	s_delay_alu instid0(SALU_CYCLE_3) | instskip(SKIP_1) | instid1(SALU_CYCLE_2)
	s_sub_f32 s13, s15, s18
	s_add_f32 s17, s15, 0x3f2aaaaa
	s_sub_f32 s13, s19, s13
	s_delay_alu instid0(SALU_CYCLE_2) | instskip(NEXT) | instid1(SALU_CYCLE_2)
	s_add_f32 s18, s17, 0xbf2aaaaa
	s_add_f32 s13, s13, 0x31739010
	s_delay_alu instid0(SALU_CYCLE_2) | instskip(NEXT) | instid1(SALU_CYCLE_2)
	s_sub_f32 s15, s15, s18
	v_mov_b64_e32 v[2:3], s[12:13]
	s_delay_alu instid0(SALU_CYCLE_2) | instskip(NEXT) | instid1(VALU_DEP_1)
	v_mov_b64_e32 v[4:5], s[14:15]
	v_pk_mul_f32 v[6:7], v[2:3], v[4:5]
	v_pk_add_f32 v[2:3], v[2:3], v[4:5]
	v_mov_b32_e32 v9, s17
	s_delay_alu instid0(VALU_DEP_3) | instskip(NEXT) | instid1(VALU_DEP_3)
	v_xor_b32_e32 v8, 0x80000000, v6
	v_mov_b32_e32 v7, v3
	s_delay_alu instid0(VALU_DEP_2) | instskip(NEXT) | instid1(VALU_DEP_1)
	v_fmac_f32_e64 v8, s14, s12
	v_fmac_f32_e64 v8, s14, s16
	s_delay_alu instid0(VALU_DEP_1) | instskip(NEXT) | instid1(VALU_DEP_1)
	v_fmac_f32_e64 v8, s23, s12
	v_pk_add_f32 v[4:5], v[6:7], v[8:9]
	s_delay_alu instid0(VALU_DEP_1) | instskip(SKIP_1) | instid1(VALU_DEP_2)
	v_dual_mov_b32 v2, v5 :: v_dual_sub_f32 v7, s17, v5
	v_mul_f32_e32 v12, 0x3f317218, v1
	v_pk_mul_f32 v[10:11], v[4:5], v[2:3]
	s_delay_alu instid0(VALU_DEP_3) | instskip(NEXT) | instid1(VALU_DEP_3)
	v_add_f32_e32 v3, v3, v7
	v_xor_b32_e32 v7, 0x80000000, v12
	s_delay_alu instid0(VALU_DEP_3) | instskip(NEXT) | instid1(VALU_DEP_2)
	v_xor_b32_e32 v2, 0x80000000, v10
	v_dual_sub_f32 v6, v4, v6 :: v_dual_fmac_f32 v7, 0x3f317218, v1
	s_delay_alu instid0(VALU_DEP_2) | instskip(NEXT) | instid1(VALU_DEP_2)
	v_fmac_f32_e32 v2, v4, v5
	v_sub_f32_e32 v6, v8, v6
	s_delay_alu instid0(VALU_DEP_2) | instskip(NEXT) | instid1(VALU_DEP_1)
	v_fmac_f32_e32 v2, v4, v3
	v_fmac_f32_e32 v2, v6, v5
	v_fmamk_f32 v4, v1, 0xb102e308, v7
	v_ldexp_f32 v5, s12, 1
	v_ldexp_f32 v1, s16, 1
	s_delay_alu instid0(VALU_DEP_2) | instskip(NEXT) | instid1(VALU_DEP_1)
	v_dual_add_f32 v13, v10, v2 :: v_dual_mov_b32 v11, v5
	v_pk_add_f32 v[6:7], v[12:13], v[4:5]
	v_dual_mov_b32 v8, v13 :: v_dual_mov_b32 v3, v13
	s_delay_alu instid0(VALU_DEP_2) | instskip(SKIP_1) | instid1(VALU_DEP_2)
	v_dual_mov_b32 v9, v7 :: v_dual_mov_b32 v5, v6
	v_mov_b32_e32 v14, v7
	v_pk_add_f32 v[8:9], v[8:9], v[10:11] neg_lo:[0,1] neg_hi:[0,1]
	s_delay_alu instid0(VALU_DEP_1) | instskip(NEXT) | instid1(VALU_DEP_1)
	v_pk_add_f32 v[2:3], v[2:3], v[8:9] neg_lo:[0,1] neg_hi:[0,1]
	v_add_f32_e32 v1, v1, v2
	s_delay_alu instid0(VALU_DEP_1) | instskip(NEXT) | instid1(VALU_DEP_1)
	v_add_f32_e32 v13, v1, v3
	v_pk_add_f32 v[2:3], v[6:7], v[12:13]
	v_pk_add_f32 v[8:9], v[6:7], v[12:13] neg_lo:[0,1] neg_hi:[0,1]
	s_delay_alu instid0(VALU_DEP_2) | instskip(NEXT) | instid1(VALU_DEP_1)
	v_mov_b32_e32 v9, v3
	v_pk_add_f32 v[10:11], v[4:5], v[8:9]
	v_pk_add_f32 v[4:5], v[4:5], v[8:9] neg_lo:[0,1] neg_hi:[0,1]
	v_dual_mov_b32 v16, v3 :: v_dual_mov_b32 v5, v6
	s_delay_alu instid0(VALU_DEP_3) | instskip(NEXT) | instid1(VALU_DEP_3)
	v_dual_mov_b32 v12, v11 :: v_dual_mov_b32 v17, v11
	v_readfirstlane_b32 s12, v4
	s_delay_alu instid0(VALU_DEP_2) | instskip(NEXT) | instid1(VALU_DEP_2)
	v_pk_add_f32 v[8:9], v[12:13], v[6:7] neg_lo:[0,1] neg_hi:[0,1]
	v_dual_mov_b32 v4, v13 :: v_dual_mov_b32 v10, s12
	s_delay_alu instid0(VALU_DEP_2) | instskip(NEXT) | instid1(VALU_DEP_1)
	v_dual_mov_b32 v15, v8 :: v_dual_mov_b32 v1, v8
	v_pk_add_f32 v[6:7], v[16:17], v[14:15] neg_lo:[0,1] neg_hi:[0,1]
	s_delay_alu instid0(VALU_DEP_2) | instskip(SKIP_1) | instid1(VALU_DEP_3)
	v_pk_add_f32 v[2:3], v[2:3], v[0:1] neg_lo:[0,1] neg_hi:[0,1]
	v_mov_b32_e32 v2, s12
	v_pk_add_f32 v[4:5], v[4:5], v[6:7] neg_lo:[0,1] neg_hi:[0,1]
	s_delay_alu instid0(VALU_DEP_1) | instskip(NEXT) | instid1(VALU_DEP_1)
	v_pk_add_f32 v[2:3], v[2:3], v[4:5]
	v_readfirstlane_b32 s13, v2
	s_delay_alu instid0(VALU_DEP_2) | instskip(NEXT) | instid1(VALU_DEP_1)
	v_mov_b32_e32 v6, v3
	v_pk_add_f32 v[6:7], v[2:3], v[6:7]
	s_delay_alu instid0(VALU_DEP_3) | instskip(NEXT) | instid1(VALU_DEP_2)
	v_mov_b32_e32 v2, s13
	v_pk_add_f32 v[8:9], v[12:13], v[6:7]
	v_mov_b32_e32 v5, v6
	s_delay_alu instid0(VALU_DEP_2) | instskip(NEXT) | instid1(VALU_DEP_1)
	v_readfirstlane_b32 s14, v8
	v_mov_b32_e32 v3, s14
	s_delay_alu instid0(VALU_DEP_1) | instskip(NEXT) | instid1(VALU_DEP_1)
	v_pk_add_f32 v[2:3], v[2:3], v[10:11] neg_lo:[0,1] neg_hi:[0,1]
	v_readfirstlane_b32 s15, v2
	s_delay_alu instid0(VALU_DEP_2) | instskip(SKIP_1) | instid1(VALU_DEP_1)
	v_pk_add_f32 v[2:3], v[4:5], v[2:3] neg_lo:[0,1] neg_hi:[0,1]
	s_sub_f32 s13, s13, s15
	v_readfirstlane_b32 s15, v2
	s_delay_alu instid0(SALU_CYCLE_2) | instskip(SKIP_1) | instid1(SALU_CYCLE_2)
	s_sub_f32 s12, s12, s13
	v_readfirstlane_b32 s13, v3
	s_add_f32 s12, s15, s12
	s_delay_alu instid0(SALU_CYCLE_3) | instskip(NEXT) | instid1(SALU_CYCLE_3)
	s_add_f32 s12, s12, s13
	s_add_f32 s13, s14, s12
	s_delay_alu instid0(SALU_CYCLE_3) | instskip(SKIP_1) | instid1(SALU_CYCLE_2)
	s_mul_f32 s15, s11, s13
	s_sub_f32 s14, s13, s14
	s_xor_b32 s16, s15, 0x80000000
	s_delay_alu instid0(SALU_CYCLE_2) | instskip(SKIP_1) | instid1(SALU_CYCLE_3)
	s_sub_f32 s12, s12, s14
	s_fmac_f32 s16, s11, s13
	s_fmac_f32 s16, s11, s12
	v_cmp_class_f32_e64 s12, s15, 0x204
	s_delay_alu instid0(SALU_CYCLE_2) | instskip(SKIP_1) | instid1(SALU_CYCLE_2)
	s_add_f32 s13, s15, s16
	s_and_b32 s12, s12, exec_lo
	s_sub_f32 s12, s13, s15
	s_cselect_b32 s13, s15, s13
	s_delay_alu instid0(SALU_CYCLE_1) | instskip(NEXT) | instid1(SALU_CYCLE_1)
	s_and_b32 s14, s13, 0x7fffffff
	s_sub_f32 s12, s16, s12
	s_cmp_neq_f32 s14, 0x7f800000
	s_delay_alu instid0(SALU_CYCLE_2) | instskip(SKIP_2) | instid1(SALU_CYCLE_1)
	s_cselect_b32 s12, s12, 0
	s_cmp_eq_f32 s13, 0x42b17218
	s_cselect_b32 s14, 0x37000000, 0
	s_sub_f32 s13, s13, s14
	s_add_f32 s12, s14, s12
	s_delay_alu instid0(SALU_CYCLE_2) | instskip(NEXT) | instid1(SALU_CYCLE_3)
	s_mul_f32 s15, s13, 0x3fb8aa3b
	s_xor_b32 s16, s15, 0x80000000
	s_rndne_f32 s17, s15
	s_fmamk_f32 s16, s13, 0x3fb8aa3b, s16
	s_cmp_nlt_f32 s13, 0xc2ce8ed0
	s_delay_alu instid0(SALU_CYCLE_1) | instskip(NEXT) | instid1(SALU_CYCLE_1)
	s_sub_f32 s15, s15, s17
	s_fmamk_f32 s16, s13, 0x32a5705f, s16
	s_cselect_b32 vcc_lo, -1, 0
	s_cmp_ngt_f32 s13, 0x42b17218
	s_trunc_f32 s13, s11
	s_add_f32 s15, s15, s16
	s_cvt_i32_f32 s16, s17
	s_delay_alu instid0(SALU_CYCLE_2)
	v_s_exp_f32 s15, s15
	v_nop
	s_delay_alu instid0(TRANS32_DEP_1) | instid1(SALU_CYCLE_1)
	v_ldexp_f32 v1, s15, s16
	s_mul_f32 s15, s11, 0.5
	s_delay_alu instid0(VALU_DEP_1) | instskip(SKIP_3) | instid1(VALU_DEP_1)
	v_cndmask_b32_e32 v1, 0, v1, vcc_lo
	s_cselect_b32 vcc_lo, -1, 0
	s_cmp_eq_f32 s13, s11
	s_trunc_f32 s16, s15
	v_cndmask_b32_e32 v1, 0x7f800000, v1, vcc_lo
	s_cselect_b32 s17, -1, 0
	s_delay_alu instid0(SALU_CYCLE_1) | instskip(NEXT) | instid1(VALU_DEP_1)
	s_cmp_neq_f32 s16, s15
	v_fma_f32 v2, s12, v1, v1
	v_cmp_class_f32_e64 vcc_lo, v1, 0x204
	s_cselect_b32 s14, -1, 0
	s_delay_alu instid0(SALU_CYCLE_1)
	s_and_b32 s12, s17, s14
	v_cndmask_b32_e32 v1, v2, v1, vcc_lo
	s_and_b32 s14, s12, exec_lo
	s_cselect_b32 s14, s3, 1.0
	s_cmp_eq_f32 s13, s11
	v_cmp_class_f32_e64 s13, s3, 0x204
	v_bfi_b32 v1, 0x7fffffff, v1, s14
	s_cselect_b32 vcc_lo, -1, 0
	s_cmp_lt_f32 s3, 0
	s_delay_alu instid0(VALU_DEP_1) | instskip(SKIP_2) | instid1(VALU_DEP_1)
	v_cndmask_b32_e32 v2, 0x7fc00000, v1, vcc_lo
	s_cselect_b32 vcc_lo, -1, 0
	s_cmp_eq_f32 s3, 0
	v_cndmask_b32_e32 v1, v1, v2, vcc_lo
	s_cselect_b32 s14, -1, 0
	s_delay_alu instid0(SALU_CYCLE_1) | instskip(SKIP_2) | instid1(SALU_CYCLE_1)
	s_or_b32 vcc_lo, s14, s13
	s_cmp_lt_f32 s11, 0
	s_cselect_b32 s11, -1, 0
	s_xor_b32 s11, s11, s14
	s_delay_alu instid0(SALU_CYCLE_1)
	s_and_b32 s11, s11, exec_lo
	s_cselect_b32 s11, 0, 0x7f800000
	s_and_b32 s12, s12, exec_lo
	s_cselect_b32 s12, s3, 0
	s_cmp_o_f32 s3, s3
	v_mov_b32_e32 v2, s12
	s_delay_alu instid0(VALU_DEP_1) | instskip(NEXT) | instid1(VALU_DEP_1)
	v_bfi_b32 v2, 0x7fffffff, s11, v2
	v_cndmask_b32_e32 v1, v1, v2, vcc_lo
	s_cselect_b32 vcc_lo, -1, 0
	s_delay_alu instid0(VALU_DEP_1)
	v_cndmask_b32_e32 v1, 0x7fc00000, v1, vcc_lo
.LBB10_8:
	s_load_b256 s[12:19], s[0:1], 0x0
	s_wait_kmcnt 0x0
	s_cmp_lg_u64 s[16:17], 0
	s_cselect_b32 s3, -1, 0
	s_cmp_eq_u64 s[16:17], 0
	s_cbranch_scc1 .LBB10_12
; %bb.9:
	s_load_b32 s11, s[16:17], s2 offset:0x0 scale_offset
	s_branch .LBB10_13
.LBB10_10:
                                        ; implicit-def: $sgpr20_sgpr21
	s_branch .LBB10_2
.LBB10_11:
                                        ; implicit-def: $sgpr24_sgpr25
	s_branch .LBB10_5
.LBB10_12:
	s_mov_b32 s11, 0xff800000
.LBB10_13:
	s_bfe_u32 s0, ttmp6, 0x4000c
	s_and_b32 s1, ttmp6, 15
	s_add_co_i32 s0, s0, 1
	s_mul_i32 s22, s27, s22
	s_mul_i32 s0, ttmp9, s0
	v_mov_b32_e32 v8, 0
	s_add_co_i32 s1, s1, s0
	s_cmp_eq_u32 s28, 0
	s_cselect_b32 s0, ttmp9, s1
	s_add_co_i32 s1, s22, s2
	s_delay_alu instid0(SALU_CYCLE_1) | instskip(NEXT) | instid1(SALU_CYCLE_1)
	s_mul_i32 s1, s1, s26
	s_add_co_i32 s22, s1, s0
	s_mov_b32 s1, 0
	s_ashr_i32 s23, s22, 31
	s_delay_alu instid0(SALU_CYCLE_1)
	s_lshl_b64 s[26:27], s[22:23], 8
	s_cmp_eq_u64 s[14:15], 0
	s_add_nc_u64 s[12:13], s[12:13], s[26:27]
	global_load_b32 v2, v0, s[12:13] scale_offset
	s_wait_xcnt 0x0
	s_cselect_b32 s12, -1, 0
	s_cmp_lg_u64 s[14:15], 0
	s_cbranch_scc0 .LBB10_15
; %bb.14:
	s_mul_u64 s[0:1], s[4:5], s[0:1]
	s_mul_u64 s[4:5], s[20:21], s[6:7]
	;; [unrolled: 1-line block ×3, first 2 shown]
	s_add_nc_u64 s[0:1], s[4:5], s[0:1]
	s_delay_alu instid0(SALU_CYCLE_1) | instskip(NEXT) | instid1(SALU_CYCLE_1)
	s_add_nc_u64 s[0:1], s[0:1], s[6:7]
	s_lshr_b64 s[0:1], s[0:1], 1
	s_and_b32 s4, s12, exec_lo
	s_cselect_b32 s1, 0, s1
	s_cselect_b32 s0, 0, s0
	s_delay_alu instid0(SALU_CYCLE_1) | instskip(NEXT) | instid1(SALU_CYCLE_1)
	s_lshl_b64 s[0:1], s[0:1], 1
	s_add_nc_u64 s[0:1], s[14:15], s[0:1]
	global_load_u16 v3, v0, s[0:1] scale_offset
	s_wait_loadcnt 0x0
	v_cvt_f32_f16_e32 v3, v3
	s_delay_alu instid0(VALU_DEP_1)
	v_mul_f32_e32 v8, v1, v3
.LBB10_15:
	v_mbcnt_lo_u32_b32 v1, -1, 0
	s_wait_loadcnt 0x0
	s_delay_alu instid0(VALU_DEP_2) | instskip(SKIP_3) | instid1(VALU_DEP_2)
	v_fmac_f32_e32 v8, s10, v2
	s_wait_kmcnt 0x0
	v_max_num_f32_e64 v2, s11, s11
	v_xor_b32_e32 v3, 16, v1
	v_dual_max_num_f32 v4, v2, v8 :: v_dual_bitop2_b32 v5, 8, v1 bitop3:0x14
	s_delay_alu instid0(VALU_DEP_2) | instskip(SKIP_1) | instid1(VALU_DEP_3)
	v_cmp_gt_i32_e32 vcc_lo, 32, v3
	v_cndmask_b32_e32 v3, v1, v3, vcc_lo
	v_cmp_gt_i32_e32 vcc_lo, 32, v5
	s_delay_alu instid0(VALU_DEP_2) | instskip(SKIP_3) | instid1(VALU_DEP_1)
	v_lshlrev_b32_e32 v2, 2, v3
	ds_bpermute_b32 v3, v2, v4
	s_wait_dscnt 0x0
	v_dual_cndmask_b32 v5, v1, v5 :: v_dual_max_num_f32 v6, v3, v3
	v_dual_lshlrev_b32 v3, 2, v5 :: v_dual_max_num_f32 v5, v4, v6
	ds_bpermute_b32 v4, v3, v5
	s_wait_dscnt 0x0
	v_dual_max_num_f32 v7, v4, v4 :: v_dual_bitop2_b32 v6, 4, v1 bitop3:0x14
	s_delay_alu instid0(VALU_DEP_1) | instskip(SKIP_1) | instid1(VALU_DEP_1)
	v_cmp_gt_i32_e32 vcc_lo, 32, v6
	v_cndmask_b32_e32 v6, v1, v6, vcc_lo
	v_dual_lshlrev_b32 v4, 2, v6 :: v_dual_max_num_f32 v6, v5, v7
	v_xor_b32_e32 v7, 2, v1
	ds_bpermute_b32 v5, v4, v6
	v_cmp_gt_i32_e32 vcc_lo, 32, v7
	s_wait_dscnt 0x0
	v_max_num_f32_e32 v9, v5, v5
	s_delay_alu instid0(VALU_DEP_1) | instskip(NEXT) | instid1(VALU_DEP_1)
	v_dual_cndmask_b32 v7, v1, v7 :: v_dual_max_num_f32 v6, v6, v9
	v_lshlrev_b32_e32 v5, 2, v7
	ds_bpermute_b32 v7, v5, v6
	s_wait_dscnt 0x0
	v_dual_max_num_f32 v7, v7, v7 :: v_dual_bitop2_b32 v9, 1, v1 bitop3:0x14
	s_delay_alu instid0(VALU_DEP_1) | instskip(NEXT) | instid1(VALU_DEP_2)
	v_cmp_gt_i32_e32 vcc_lo, 32, v9
	v_dual_max_num_f32 v10, v6, v7 :: v_dual_cndmask_b32 v1, v1, v9
	v_dual_lshrrev_b32 v7, 3, v0 :: v_dual_bitop2_b32 v9, 31, v0 bitop3:0x40
	s_delay_alu instid0(VALU_DEP_2) | instskip(SKIP_1) | instid1(VALU_DEP_3)
	v_lshlrev_b32_e32 v6, 2, v1
	v_lshl_add_u32 v1, v0, 2, 0
	v_cmp_eq_u32_e32 vcc_lo, 0, v9
	ds_bpermute_b32 v11, v6, v10
	ds_store_b32 v1, v8 offset:128
	s_and_saveexec_b32 s0, vcc_lo
	s_delay_alu instid0(SALU_CYCLE_1)
	s_xor_b32 s0, exec_lo, s0
	s_cbranch_execz .LBB10_17
; %bb.16:
	s_wait_dscnt 0x1
	v_dual_max_num_f32 v8, v11, v11 :: v_dual_max_num_f32 v10, v10, v10
	s_delay_alu instid0(VALU_DEP_1)
	v_dual_max_num_f32 v8, v10, v8 :: v_dual_add_nc_u32 v10, 0, v7
	ds_store_b32 v10, v8
.LBB10_17:
	s_or_b32 exec_lo, exec_lo, s0
	v_cmp_gt_u32_e64 s0, 2, v9
	v_mov_b32_e32 v10, 0xff800000
	v_lshl_add_u32 v8, v9, 2, 0
	s_wait_dscnt 0x0
	s_barrier_signal -1
	s_barrier_wait -1
	s_and_saveexec_b32 s1, s0
; %bb.18:
	ds_load_b32 v10, v8
; %bb.19:
	s_or_b32 exec_lo, exec_lo, s1
	s_wait_dscnt 0x0
	ds_bpermute_b32 v9, v2, v10
	v_max_num_f32_e32 v10, v10, v10
	ds_load_b32 v11, v1 offset:128
	s_wait_dscnt 0x1
	v_max_num_f32_e32 v9, v9, v9
	s_delay_alu instid0(VALU_DEP_1) | instskip(SKIP_3) | instid1(VALU_DEP_1)
	v_max_num_f32_e32 v9, v10, v9
	ds_bpermute_b32 v10, v3, v9
	s_wait_dscnt 0x0
	v_max_num_f32_e32 v10, v10, v10
	v_max_num_f32_e32 v9, v9, v10
	ds_bpermute_b32 v10, v4, v9
	s_wait_dscnt 0x0
	v_max_num_f32_e32 v10, v10, v10
	s_delay_alu instid0(VALU_DEP_1) | instskip(SKIP_3) | instid1(VALU_DEP_1)
	v_max_num_f32_e32 v9, v9, v10
	ds_bpermute_b32 v10, v5, v9
	s_wait_dscnt 0x0
	v_max_num_f32_e32 v10, v10, v10
	v_max_num_f32_e32 v9, v9, v10
	ds_bpermute_b32 v10, v6, v9
	s_wait_dscnt 0x0
	v_max_num_f32_e32 v10, v10, v10
	s_delay_alu instid0(VALU_DEP_1) | instskip(NEXT) | instid1(VALU_DEP_1)
	v_max_num_f32_e32 v9, v9, v10
	v_sub_f32_e32 v10, v11, v9
	s_delay_alu instid0(VALU_DEP_1) | instskip(NEXT) | instid1(VALU_DEP_1)
	v_mul_f32_e32 v11, 0x3fb8aa3b, v10
	v_fma_f32 v12, 0x3fb8aa3b, v10, -v11
	v_rndne_f32_e32 v13, v11
	s_delay_alu instid0(VALU_DEP_1) | instskip(NEXT) | instid1(VALU_DEP_1)
	v_dual_fmamk_f32 v12, v10, 0x32a5705f, v12 :: v_dual_sub_f32 v11, v11, v13
	v_add_f32_e32 v11, v11, v12
	v_cvt_i32_f32_e32 v12, v13
	v_cmp_ngt_f32_e64 s1, 0xc2ce8ed0, v10
	s_delay_alu instid0(VALU_DEP_3) | instskip(SKIP_1) | instid1(TRANS32_DEP_1)
	v_exp_f32_e32 v11, v11
	v_nop
	v_ldexp_f32 v11, v11, v12
	s_delay_alu instid0(VALU_DEP_1) | instskip(SKIP_1) | instid1(VALU_DEP_1)
	v_cndmask_b32_e64 v11, 0, v11, s1
	v_cmp_nlt_f32_e64 s1, 0x42b17218, v10
	v_cndmask_b32_e64 v12, 0x7f800000, v11, s1
	ds_bpermute_b32 v10, v2, v12
	ds_store_b32 v1, v12 offset:128
	s_wait_dscnt 0x1
	v_add_f32_e32 v10, v12, v10
	ds_bpermute_b32 v11, v3, v10
	s_wait_dscnt 0x0
	v_add_f32_e32 v10, v10, v11
	ds_bpermute_b32 v11, v4, v10
	;; [unrolled: 3-line block ×4, first 2 shown]
	s_and_saveexec_b32 s1, vcc_lo
	s_cbranch_execz .LBB10_21
; %bb.20:
	s_wait_dscnt 0x0
	v_add_f32_e32 v10, v10, v11
	v_add_nc_u32_e32 v7, 0, v7
	ds_store_b32 v7, v10
.LBB10_21:
	s_or_b32 exec_lo, exec_lo, s1
	v_mov_b32_e32 v7, 0
	s_wait_dscnt 0x0
	s_barrier_signal -1
	s_barrier_wait -1
	s_and_saveexec_b32 s1, s0
; %bb.22:
	ds_load_b32 v7, v8
; %bb.23:
	s_or_b32 exec_lo, exec_lo, s1
	s_wait_dscnt 0x0
	ds_bpermute_b32 v2, v2, v7
	s_and_not1_b32 vcc_lo, exec_lo, s3
	s_lshl_b64 s[0:1], s[22:23], 6
	s_wait_dscnt 0x0
	v_add_f32_e32 v2, v7, v2
	ds_bpermute_b32 v3, v3, v2
	s_wait_dscnt 0x0
	v_add_f32_e32 v2, v2, v3
	ds_bpermute_b32 v3, v4, v2
	;; [unrolled: 3-line block ×4, first 2 shown]
	s_wait_dscnt 0x0
	v_add_f32_e32 v2, v2, v3
	s_cbranch_vccnz .LBB10_25
; %bb.24:
	s_load_b32 s2, s[16:17], s2 offset:0x0 scale_offset
	s_wait_kmcnt 0x0
	v_sub_f32_e32 v3, s2, v9
	s_delay_alu instid0(VALU_DEP_1) | instskip(NEXT) | instid1(VALU_DEP_1)
	v_mul_f32_e32 v4, 0x3fb8aa3b, v3
	v_fma_f32 v5, 0x3fb8aa3b, v3, -v4
	v_rndne_f32_e32 v6, v4
	s_delay_alu instid0(VALU_DEP_1) | instskip(SKIP_1) | instid1(VALU_DEP_4)
	v_sub_f32_e32 v4, v4, v6
	v_cmp_ngt_f32_e32 vcc_lo, 0xc2ce8ed0, v3
	v_fmamk_f32 v5, v3, 0x32a5705f, v5
	s_delay_alu instid0(VALU_DEP_1) | instskip(SKIP_1) | instid1(VALU_DEP_2)
	v_add_f32_e32 v4, v4, v5
	v_cvt_i32_f32_e32 v5, v6
	v_exp_f32_e32 v4, v4
	v_nop
	s_delay_alu instid0(TRANS32_DEP_1) | instskip(NEXT) | instid1(VALU_DEP_1)
	v_ldexp_f32 v4, v4, v5
	v_cndmask_b32_e32 v4, 0, v4, vcc_lo
	v_cmp_nlt_f32_e32 vcc_lo, 0x42b17218, v3
	s_delay_alu instid0(VALU_DEP_2) | instskip(NEXT) | instid1(VALU_DEP_1)
	v_cndmask_b32_e32 v3, 0x7f800000, v4, vcc_lo
	v_add_f32_e32 v2, v2, v3
.LBB10_25:
	s_delay_alu instid0(VALU_DEP_1) | instskip(SKIP_4) | instid1(SALU_CYCLE_1)
	v_div_scale_f32 v3, null, v2, v2, 1.0
	v_div_scale_f32 v6, vcc_lo, 1.0, v2, 1.0
	ds_load_b32 v1, v1 offset:128
	v_rcp_f32_e32 v4, v3
	s_lshl_b64 s[0:1], s[0:1], 2
	s_add_nc_u64 s[0:1], s[18:19], s[0:1]
	v_nop
	s_delay_alu instid0(TRANS32_DEP_1) | instskip(NEXT) | instid1(VALU_DEP_1)
	v_fma_f32 v5, -v3, v4, 1.0
	v_fmac_f32_e32 v4, v5, v4
	s_delay_alu instid0(VALU_DEP_1) | instskip(NEXT) | instid1(VALU_DEP_1)
	v_mul_f32_e32 v5, v6, v4
	v_fma_f32 v7, -v3, v5, v6
	s_delay_alu instid0(VALU_DEP_1) | instskip(NEXT) | instid1(VALU_DEP_1)
	v_fmac_f32_e32 v5, v7, v4
	v_fma_f32 v3, -v3, v5, v6
	s_delay_alu instid0(VALU_DEP_1) | instskip(NEXT) | instid1(VALU_DEP_1)
	v_div_fmas_f32 v3, v3, v4, v5
	v_div_fixup_f32 v2, v3, v2, 1.0
	s_wait_dscnt 0x0
	s_delay_alu instid0(VALU_DEP_1)
	v_mul_f32_e32 v1, v2, v1
	global_store_b32 v0, v1, s[0:1] scale_offset
	s_endpgm
	.section	.rodata,"a",@progbits
	.p2align	6, 0x0
	.amdhsa_kernel _ZL12soft_max_f32ILb1ELi64ELi64E6__halfEvPKfPKT2_S2_Pf15soft_max_params
		.amdhsa_group_segment_fixed_size 0
		.amdhsa_private_segment_fixed_size 0
		.amdhsa_kernarg_size 416
		.amdhsa_user_sgpr_count 2
		.amdhsa_user_sgpr_dispatch_ptr 0
		.amdhsa_user_sgpr_queue_ptr 0
		.amdhsa_user_sgpr_kernarg_segment_ptr 1
		.amdhsa_user_sgpr_dispatch_id 0
		.amdhsa_user_sgpr_kernarg_preload_length 0
		.amdhsa_user_sgpr_kernarg_preload_offset 0
		.amdhsa_user_sgpr_private_segment_size 0
		.amdhsa_wavefront_size32 1
		.amdhsa_uses_dynamic_stack 0
		.amdhsa_enable_private_segment 0
		.amdhsa_system_sgpr_workgroup_id_x 1
		.amdhsa_system_sgpr_workgroup_id_y 1
		.amdhsa_system_sgpr_workgroup_id_z 1
		.amdhsa_system_sgpr_workgroup_info 0
		.amdhsa_system_vgpr_workitem_id 0
		.amdhsa_next_free_vgpr 18
		.amdhsa_next_free_sgpr 36
		.amdhsa_named_barrier_count 0
		.amdhsa_reserve_vcc 1
		.amdhsa_float_round_mode_32 0
		.amdhsa_float_round_mode_16_64 0
		.amdhsa_float_denorm_mode_32 3
		.amdhsa_float_denorm_mode_16_64 3
		.amdhsa_fp16_overflow 0
		.amdhsa_memory_ordered 1
		.amdhsa_forward_progress 1
		.amdhsa_inst_pref_size 35
		.amdhsa_round_robin_scheduling 0
		.amdhsa_exception_fp_ieee_invalid_op 0
		.amdhsa_exception_fp_denorm_src 0
		.amdhsa_exception_fp_ieee_div_zero 0
		.amdhsa_exception_fp_ieee_overflow 0
		.amdhsa_exception_fp_ieee_underflow 0
		.amdhsa_exception_fp_ieee_inexact 0
		.amdhsa_exception_int_div_zero 0
	.end_amdhsa_kernel
	.section	.text._ZL12soft_max_f32ILb1ELi64ELi64E6__halfEvPKfPKT2_S2_Pf15soft_max_params,"axG",@progbits,_ZL12soft_max_f32ILb1ELi64ELi64E6__halfEvPKfPKT2_S2_Pf15soft_max_params,comdat
.Lfunc_end10:
	.size	_ZL12soft_max_f32ILb1ELi64ELi64E6__halfEvPKfPKT2_S2_Pf15soft_max_params, .Lfunc_end10-_ZL12soft_max_f32ILb1ELi64ELi64E6__halfEvPKfPKT2_S2_Pf15soft_max_params
                                        ; -- End function
	.set _ZL12soft_max_f32ILb1ELi64ELi64E6__halfEvPKfPKT2_S2_Pf15soft_max_params.num_vgpr, 18
	.set _ZL12soft_max_f32ILb1ELi64ELi64E6__halfEvPKfPKT2_S2_Pf15soft_max_params.num_agpr, 0
	.set _ZL12soft_max_f32ILb1ELi64ELi64E6__halfEvPKfPKT2_S2_Pf15soft_max_params.numbered_sgpr, 36
	.set _ZL12soft_max_f32ILb1ELi64ELi64E6__halfEvPKfPKT2_S2_Pf15soft_max_params.num_named_barrier, 0
	.set _ZL12soft_max_f32ILb1ELi64ELi64E6__halfEvPKfPKT2_S2_Pf15soft_max_params.private_seg_size, 0
	.set _ZL12soft_max_f32ILb1ELi64ELi64E6__halfEvPKfPKT2_S2_Pf15soft_max_params.uses_vcc, 1
	.set _ZL12soft_max_f32ILb1ELi64ELi64E6__halfEvPKfPKT2_S2_Pf15soft_max_params.uses_flat_scratch, 0
	.set _ZL12soft_max_f32ILb1ELi64ELi64E6__halfEvPKfPKT2_S2_Pf15soft_max_params.has_dyn_sized_stack, 0
	.set _ZL12soft_max_f32ILb1ELi64ELi64E6__halfEvPKfPKT2_S2_Pf15soft_max_params.has_recursion, 0
	.set _ZL12soft_max_f32ILb1ELi64ELi64E6__halfEvPKfPKT2_S2_Pf15soft_max_params.has_indirect_call, 0
	.section	.AMDGPU.csdata,"",@progbits
; Kernel info:
; codeLenInByte = 4384
; TotalNumSgprs: 38
; NumVgprs: 18
; ScratchSize: 0
; MemoryBound: 0
; FloatMode: 240
; IeeeMode: 1
; LDSByteSize: 0 bytes/workgroup (compile time only)
; SGPRBlocks: 0
; VGPRBlocks: 1
; NumSGPRsForWavesPerEU: 38
; NumVGPRsForWavesPerEU: 18
; NamedBarCnt: 0
; Occupancy: 16
; WaveLimiterHint : 1
; COMPUTE_PGM_RSRC2:SCRATCH_EN: 0
; COMPUTE_PGM_RSRC2:USER_SGPR: 2
; COMPUTE_PGM_RSRC2:TRAP_HANDLER: 0
; COMPUTE_PGM_RSRC2:TGID_X_EN: 1
; COMPUTE_PGM_RSRC2:TGID_Y_EN: 1
; COMPUTE_PGM_RSRC2:TGID_Z_EN: 1
; COMPUTE_PGM_RSRC2:TIDIG_COMP_CNT: 0
	.section	.text._ZL12soft_max_f32ILb1ELi32ELi32E6__halfEvPKfPKT2_S2_Pf15soft_max_params,"axG",@progbits,_ZL12soft_max_f32ILb1ELi32ELi32E6__halfEvPKfPKT2_S2_Pf15soft_max_params,comdat
	.globl	_ZL12soft_max_f32ILb1ELi32ELi32E6__halfEvPKfPKT2_S2_Pf15soft_max_params ; -- Begin function _ZL12soft_max_f32ILb1ELi32ELi32E6__halfEvPKfPKT2_S2_Pf15soft_max_params
	.p2align	8
	.type	_ZL12soft_max_f32ILb1ELi32ELi32E6__halfEvPKfPKT2_S2_Pf15soft_max_params,@function
_ZL12soft_max_f32ILb1ELi32ELi32E6__halfEvPKfPKT2_S2_Pf15soft_max_params: ; @_ZL12soft_max_f32ILb1ELi32ELi32E6__halfEvPKfPKT2_S2_Pf15soft_max_params
; %bb.0:
	s_clause 0x1
	s_load_b256 s[4:11], s[0:1], 0x68
	s_load_b64 s[12:13], s[0:1], 0x88
	s_bfe_u32 s2, ttmp6, 0x40010
	s_and_b32 s3, ttmp7, 0xffff
	s_add_co_i32 s2, s2, 1
	s_bfe_u32 s14, ttmp6, 0x40004
	s_mul_i32 s2, s3, s2
	s_getreg_b32 s28, hwreg(HW_REG_IB_STS2, 6, 4)
	s_add_co_i32 s14, s14, s2
	s_cmp_eq_u32 s28, 0
	s_cselect_b32 s2, s3, s14
	s_mov_b32 s3, 0
	s_wait_kmcnt 0x0
	s_and_b64 s[14:15], s[10:11], 0xffffffff00000000
	s_delay_alu instid0(SALU_CYCLE_1)
	s_cmp_lg_u64 s[14:15], 0
	s_cbranch_scc0 .LBB11_10
; %bb.1:
	s_ashr_i32 s14, s11, 31
	s_mov_b32 s21, s3
	s_mov_b32 s15, s14
	;; [unrolled: 1-line block ×3, first 2 shown]
	s_add_nc_u64 s[16:17], s[10:11], s[14:15]
	s_delay_alu instid0(SALU_CYCLE_1) | instskip(NEXT) | instid1(SALU_CYCLE_1)
	s_xor_b64 s[14:15], s[16:17], s[14:15]
	s_cvt_f32_u32 s11, s14
	s_cvt_f32_u32 s16, s15
	s_sub_nc_u64 s[18:19], 0, s[14:15]
	s_delay_alu instid0(SALU_CYCLE_2) | instskip(NEXT) | instid1(SALU_CYCLE_3)
	s_fmamk_f32 s11, s16, 0x4f800000, s11
	v_s_rcp_f32 s11, s11
	s_delay_alu instid0(TRANS32_DEP_1) | instskip(NEXT) | instid1(SALU_CYCLE_3)
	s_mul_f32 s11, s11, 0x5f7ffffc
	s_mul_f32 s16, s11, 0x2f800000
	s_delay_alu instid0(SALU_CYCLE_3) | instskip(NEXT) | instid1(SALU_CYCLE_3)
	s_trunc_f32 s16, s16
	s_fmamk_f32 s11, s16, 0xcf800000, s11
	s_cvt_u32_f32 s17, s16
	s_delay_alu instid0(SALU_CYCLE_2) | instskip(NEXT) | instid1(SALU_CYCLE_3)
	s_cvt_u32_f32 s16, s11
	s_mul_u64 s[22:23], s[18:19], s[16:17]
	s_delay_alu instid0(SALU_CYCLE_1)
	s_mul_hi_u32 s27, s16, s23
	s_mul_i32 s26, s16, s23
	s_mul_hi_u32 s20, s16, s22
	s_mul_i32 s24, s17, s22
	s_add_nc_u64 s[20:21], s[20:21], s[26:27]
	s_mul_hi_u32 s11, s17, s22
	s_mul_hi_u32 s29, s17, s23
	s_add_co_u32 s20, s20, s24
	s_add_co_ci_u32 s24, s21, s11
	s_mul_i32 s22, s17, s23
	s_add_co_ci_u32 s23, s29, 0
	s_delay_alu instid0(SALU_CYCLE_1) | instskip(SKIP_3) | instid1(SALU_CYCLE_1)
	s_add_nc_u64 s[20:21], s[24:25], s[22:23]
	s_mov_b32 s23, s3
	s_add_co_u32 s16, s16, s20
	s_cselect_b32 s11, -1, 0
	s_cmp_lg_u32 s11, 0
	s_add_co_ci_u32 s17, s17, s21
	s_mov_b32 s21, s3
	s_mul_u64 s[18:19], s[18:19], s[16:17]
	s_delay_alu instid0(SALU_CYCLE_1)
	s_mul_hi_u32 s25, s16, s19
	s_mul_i32 s24, s16, s19
	s_mul_hi_u32 s20, s16, s18
	s_mul_i32 s22, s17, s18
	s_add_nc_u64 s[20:21], s[20:21], s[24:25]
	s_mul_hi_u32 s11, s17, s18
	s_mul_hi_u32 s26, s17, s19
	s_mul_i32 s18, s17, s19
	s_add_co_u32 s19, s20, s22
	s_add_co_ci_u32 s22, s21, s11
	s_add_co_ci_u32 s19, s26, 0
	s_add_nc_u64 s[20:21], s[2:3], 0
	s_add_nc_u64 s[18:19], s[22:23], s[18:19]
	s_delay_alu instid0(SALU_CYCLE_1) | instskip(SKIP_1) | instid1(SALU_CYCLE_1)
	s_add_co_u32 s11, s16, s18
	s_cselect_b32 s16, -1, 0
	s_cmp_lg_u32 s16, 0
	s_add_co_ci_u32 s18, s17, s19
	s_xor_b64 s[16:17], s[20:21], 0
	s_mov_b32 s19, s3
	s_mul_hi_u32 s21, s16, s18
	s_mul_i32 s20, s16, s18
	s_mul_hi_u32 s22, s16, s11
	s_mul_hi_u32 s25, s17, s11
	s_mul_i32 s11, s17, s11
	s_add_nc_u64 s[20:21], s[22:23], s[20:21]
	s_mul_hi_u32 s24, s17, s18
	s_add_co_u32 s11, s20, s11
	s_mul_i32 s22, s17, s18
	s_add_co_ci_u32 s18, s21, s25
	s_add_co_ci_u32 s23, s24, 0
	s_delay_alu instid0(SALU_CYCLE_1) | instskip(NEXT) | instid1(SALU_CYCLE_1)
	s_add_nc_u64 s[18:19], s[18:19], s[22:23]
	s_and_b64 s[20:21], s[18:19], 0xffffffff00000000
	s_delay_alu instid0(SALU_CYCLE_1) | instskip(NEXT) | instid1(SALU_CYCLE_1)
	s_or_b32 s20, s20, s18
	s_mul_u64 s[18:19], s[14:15], s[20:21]
	s_delay_alu instid0(SALU_CYCLE_1)
	s_sub_co_u32 s11, s16, s18
	s_cselect_b32 s16, -1, 0
	s_sub_co_i32 s18, s17, s19
	s_cmp_lg_u32 s16, 0
	s_sub_co_ci_u32 s18, s18, s15
	s_sub_co_u32 s20, s11, s14
	s_cselect_b32 s21, -1, 0
	s_delay_alu instid0(SALU_CYCLE_1) | instskip(SKIP_1) | instid1(SALU_CYCLE_1)
	s_cmp_lg_u32 s21, 0
	s_sub_co_ci_u32 s22, s18, 0
	s_cmp_ge_u32 s22, s15
	s_cselect_b32 s23, -1, 0
	s_cmp_ge_u32 s20, s14
	s_cselect_b32 s24, -1, 0
	s_cmp_eq_u32 s22, s15
	s_cselect_b32 s23, s24, s23
	s_cmp_lg_u32 s21, 0
	s_sub_co_ci_u32 s18, s18, s15
	s_sub_co_u32 s21, s20, s14
	s_cselect_b32 s24, -1, 0
	s_delay_alu instid0(SALU_CYCLE_1)
	s_cmp_lg_u32 s24, 0
	s_sub_co_ci_u32 s18, s18, 0
	s_cmp_lg_u32 s23, 0
	s_cselect_b32 s20, s21, s20
	s_cselect_b32 s18, s18, s22
	s_cmp_lg_u32 s16, 0
	s_sub_co_ci_u32 s16, s17, s19
	s_delay_alu instid0(SALU_CYCLE_1)
	s_cmp_ge_u32 s16, s15
	s_cselect_b32 s17, -1, 0
	s_cmp_ge_u32 s11, s14
	s_cselect_b32 s14, -1, 0
	s_cmp_eq_u32 s16, s15
	s_cselect_b32 s14, s14, s17
	s_delay_alu instid0(SALU_CYCLE_1) | instskip(SKIP_2) | instid1(SALU_CYCLE_1)
	s_cmp_lg_u32 s14, 0
	s_cselect_b32 s15, s18, s16
	s_cselect_b32 s14, s20, s11
	s_xor_b64 s[14:15], s[14:15], 0
	s_delay_alu instid0(SALU_CYCLE_1)
	s_sub_nc_u64 s[20:21], s[14:15], 0
	s_and_not1_b32 vcc_lo, exec_lo, s3
	s_cbranch_vccnz .LBB11_3
.LBB11_2:
	v_cvt_f32_u32_e32 v1, s10
	s_sub_co_i32 s11, 0, s10
	s_mov_b32 s21, 0
	s_delay_alu instid0(VALU_DEP_1) | instskip(SKIP_1) | instid1(TRANS32_DEP_1)
	v_rcp_iflag_f32_e32 v1, v1
	v_nop
	v_mul_f32_e32 v1, 0x4f7ffffe, v1
	s_delay_alu instid0(VALU_DEP_1) | instskip(NEXT) | instid1(VALU_DEP_1)
	v_cvt_u32_f32_e32 v1, v1
	v_readfirstlane_b32 s3, v1
	s_mul_i32 s11, s11, s3
	s_delay_alu instid0(SALU_CYCLE_1) | instskip(NEXT) | instid1(SALU_CYCLE_1)
	s_mul_hi_u32 s11, s3, s11
	s_add_co_i32 s3, s3, s11
	s_delay_alu instid0(SALU_CYCLE_1) | instskip(NEXT) | instid1(SALU_CYCLE_1)
	s_mul_hi_u32 s3, s2, s3
	s_mul_i32 s3, s3, s10
	s_delay_alu instid0(SALU_CYCLE_1) | instskip(NEXT) | instid1(SALU_CYCLE_1)
	s_sub_co_i32 s3, s2, s3
	s_sub_co_i32 s11, s3, s10
	s_cmp_ge_u32 s3, s10
	s_cselect_b32 s3, s11, s3
	s_delay_alu instid0(SALU_CYCLE_1)
	s_sub_co_i32 s11, s3, s10
	s_cmp_ge_u32 s3, s10
	s_cselect_b32 s20, s11, s3
.LBB11_3:
	s_load_b64 s[10:11], s[0:1], 0x90
	s_bfe_u32 s3, ttmp6, 0x40014
	s_lshr_b32 s14, ttmp7, 16
	s_add_co_i32 s3, s3, 1
	s_bfe_u32 s15, ttmp6, 0x40008
	s_mul_i32 s3, s14, s3
	s_mov_b32 s23, 0
	s_add_co_i32 s15, s15, s3
	s_cmp_eq_u32 s28, 0
	s_cselect_b32 s22, s14, s15
	s_and_b64 s[14:15], s[12:13], 0xffffffff00000000
	s_delay_alu instid0(SALU_CYCLE_1)
	s_cmp_lg_u64 s[14:15], 0
	s_cbranch_scc0 .LBB11_11
; %bb.4:
	s_ashr_i32 s14, s13, 31
	s_mov_b32 s25, s23
	s_mov_b32 s15, s14
	;; [unrolled: 1-line block ×3, first 2 shown]
	s_add_nc_u64 s[16:17], s[12:13], s[14:15]
	s_delay_alu instid0(SALU_CYCLE_1) | instskip(NEXT) | instid1(SALU_CYCLE_1)
	s_xor_b64 s[14:15], s[16:17], s[14:15]
	s_cvt_f32_u32 s3, s14
	s_cvt_f32_u32 s13, s15
	s_sub_nc_u64 s[18:19], 0, s[14:15]
	s_delay_alu instid0(SALU_CYCLE_2) | instskip(NEXT) | instid1(SALU_CYCLE_3)
	s_fmamk_f32 s3, s13, 0x4f800000, s3
	v_s_rcp_f32 s3, s3
	s_delay_alu instid0(TRANS32_DEP_1) | instskip(NEXT) | instid1(SALU_CYCLE_3)
	s_mul_f32 s3, s3, 0x5f7ffffc
	s_mul_f32 s13, s3, 0x2f800000
	s_delay_alu instid0(SALU_CYCLE_3) | instskip(NEXT) | instid1(SALU_CYCLE_3)
	s_trunc_f32 s13, s13
	s_fmamk_f32 s3, s13, 0xcf800000, s3
	s_cvt_u32_f32 s17, s13
	s_delay_alu instid0(SALU_CYCLE_2) | instskip(NEXT) | instid1(SALU_CYCLE_3)
	s_cvt_u32_f32 s16, s3
	s_mul_u64 s[26:27], s[18:19], s[16:17]
	s_delay_alu instid0(SALU_CYCLE_1)
	s_mul_hi_u32 s35, s16, s27
	s_mul_i32 s34, s16, s27
	s_mul_hi_u32 s24, s16, s26
	s_mul_i32 s13, s17, s26
	s_add_nc_u64 s[24:25], s[24:25], s[34:35]
	s_mul_hi_u32 s3, s17, s26
	s_mul_hi_u32 s29, s17, s27
	s_add_co_u32 s13, s24, s13
	s_add_co_ci_u32 s30, s25, s3
	s_mul_i32 s26, s17, s27
	s_add_co_ci_u32 s27, s29, 0
	s_delay_alu instid0(SALU_CYCLE_1) | instskip(SKIP_3) | instid1(SALU_CYCLE_1)
	s_add_nc_u64 s[24:25], s[30:31], s[26:27]
	s_mov_b32 s27, s23
	s_add_co_u32 s16, s16, s24
	s_cselect_b32 s3, -1, 0
	s_cmp_lg_u32 s3, 0
	s_add_co_ci_u32 s17, s17, s25
	s_mov_b32 s25, s23
	s_mul_u64 s[18:19], s[18:19], s[16:17]
	s_delay_alu instid0(SALU_CYCLE_1)
	s_mul_hi_u32 s31, s16, s19
	s_mul_i32 s30, s16, s19
	s_mul_hi_u32 s24, s16, s18
	s_mul_i32 s13, s17, s18
	s_add_nc_u64 s[24:25], s[24:25], s[30:31]
	s_mul_hi_u32 s3, s17, s18
	s_mul_hi_u32 s29, s17, s19
	s_add_co_u32 s13, s24, s13
	s_add_co_ci_u32 s26, s25, s3
	s_mul_i32 s18, s17, s19
	s_add_co_ci_u32 s19, s29, 0
	s_add_nc_u64 s[24:25], s[22:23], 0
	s_add_nc_u64 s[18:19], s[26:27], s[18:19]
	s_delay_alu instid0(SALU_CYCLE_1) | instskip(SKIP_1) | instid1(SALU_CYCLE_1)
	s_add_co_u32 s3, s16, s18
	s_cselect_b32 s13, -1, 0
	s_cmp_lg_u32 s13, 0
	s_add_co_ci_u32 s13, s17, s19
	s_xor_b64 s[16:17], s[24:25], 0
	s_mov_b32 s19, s23
	s_mul_hi_u32 s25, s16, s13
	s_mul_i32 s24, s16, s13
	s_mul_hi_u32 s26, s16, s3
	s_mul_hi_u32 s18, s17, s3
	s_mul_i32 s3, s17, s3
	s_add_nc_u64 s[24:25], s[26:27], s[24:25]
	s_mul_hi_u32 s29, s17, s13
	s_add_co_u32 s3, s24, s3
	s_add_co_ci_u32 s18, s25, s18
	s_mul_i32 s26, s17, s13
	s_add_co_ci_u32 s27, s29, 0
	s_delay_alu instid0(SALU_CYCLE_1) | instskip(NEXT) | instid1(SALU_CYCLE_1)
	s_add_nc_u64 s[18:19], s[18:19], s[26:27]
	s_and_b64 s[24:25], s[18:19], 0xffffffff00000000
	s_delay_alu instid0(SALU_CYCLE_1) | instskip(NEXT) | instid1(SALU_CYCLE_1)
	s_or_b32 s24, s24, s18
	s_mul_u64 s[18:19], s[14:15], s[24:25]
	s_delay_alu instid0(SALU_CYCLE_1)
	s_sub_co_u32 s3, s16, s18
	s_cselect_b32 s13, -1, 0
	s_sub_co_i32 s16, s17, s19
	s_cmp_lg_u32 s13, 0
	s_sub_co_ci_u32 s16, s16, s15
	s_sub_co_u32 s18, s3, s14
	s_cselect_b32 s24, -1, 0
	s_delay_alu instid0(SALU_CYCLE_1) | instskip(SKIP_1) | instid1(SALU_CYCLE_1)
	s_cmp_lg_u32 s24, 0
	s_sub_co_ci_u32 s25, s16, 0
	s_cmp_ge_u32 s25, s15
	s_cselect_b32 s26, -1, 0
	s_cmp_ge_u32 s18, s14
	s_cselect_b32 s27, -1, 0
	s_cmp_eq_u32 s25, s15
	s_cselect_b32 s26, s27, s26
	s_cmp_lg_u32 s24, 0
	s_sub_co_ci_u32 s16, s16, s15
	s_sub_co_u32 s24, s18, s14
	s_cselect_b32 s27, -1, 0
	s_delay_alu instid0(SALU_CYCLE_1)
	s_cmp_lg_u32 s27, 0
	s_sub_co_ci_u32 s16, s16, 0
	s_cmp_lg_u32 s26, 0
	s_cselect_b32 s18, s24, s18
	s_cselect_b32 s16, s16, s25
	s_cmp_lg_u32 s13, 0
	s_sub_co_ci_u32 s13, s17, s19
	s_delay_alu instid0(SALU_CYCLE_1)
	s_cmp_ge_u32 s13, s15
	s_cselect_b32 s17, -1, 0
	s_cmp_ge_u32 s3, s14
	s_cselect_b32 s14, -1, 0
	s_cmp_eq_u32 s13, s15
	s_cselect_b32 s14, s14, s17
	s_delay_alu instid0(SALU_CYCLE_1) | instskip(SKIP_2) | instid1(SALU_CYCLE_1)
	s_cmp_lg_u32 s14, 0
	s_cselect_b32 s15, s16, s13
	s_cselect_b32 s14, s18, s3
	s_xor_b64 s[14:15], s[14:15], 0
	s_delay_alu instid0(SALU_CYCLE_1)
	s_sub_nc_u64 s[24:25], s[14:15], 0
	s_and_not1_b32 vcc_lo, exec_lo, s23
	s_cbranch_vccnz .LBB11_6
.LBB11_5:
	v_cvt_f32_u32_e32 v1, s12
	s_sub_co_i32 s13, 0, s12
	s_mov_b32 s25, 0
	s_delay_alu instid0(VALU_DEP_1) | instskip(SKIP_1) | instid1(TRANS32_DEP_1)
	v_rcp_iflag_f32_e32 v1, v1
	v_nop
	v_mul_f32_e32 v1, 0x4f7ffffe, v1
	s_delay_alu instid0(VALU_DEP_1) | instskip(NEXT) | instid1(VALU_DEP_1)
	v_cvt_u32_f32_e32 v1, v1
	v_readfirstlane_b32 s3, v1
	s_mul_i32 s13, s13, s3
	s_delay_alu instid0(SALU_CYCLE_1) | instskip(NEXT) | instid1(SALU_CYCLE_1)
	s_mul_hi_u32 s13, s3, s13
	s_add_co_i32 s3, s3, s13
	s_delay_alu instid0(SALU_CYCLE_1) | instskip(NEXT) | instid1(SALU_CYCLE_1)
	s_mul_hi_u32 s3, s22, s3
	s_mul_i32 s3, s3, s12
	s_delay_alu instid0(SALU_CYCLE_1) | instskip(NEXT) | instid1(SALU_CYCLE_1)
	s_sub_co_i32 s3, s22, s3
	s_sub_co_i32 s13, s3, s12
	s_cmp_ge_u32 s3, s12
	s_cselect_b32 s3, s13, s3
	s_delay_alu instid0(SALU_CYCLE_1)
	s_sub_co_i32 s13, s3, s12
	s_cmp_ge_u32 s3, s12
	s_cselect_b32 s24, s13, s3
.LBB11_6:
	s_load_b64 s[26:27], s[0:1], 0xa0
	v_mov_b32_e32 v1, 1.0
	s_wait_kmcnt 0x0
	s_cmp_le_f32 s11, 0
	s_cbranch_scc1 .LBB11_8
; %bb.7:
	s_clause 0x1
	s_load_b32 s3, s[0:1], 0x28
	s_load_b64 s[12:13], s[0:1], 0x98
	s_add_co_i32 s14, s2, 1
	s_wait_kmcnt 0x0
	s_sub_co_i32 s11, s2, s3
	s_delay_alu instid0(SALU_CYCLE_1) | instskip(NEXT) | instid1(SALU_CYCLE_1)
	s_lshl_b32 s11, s11, 1
	s_or_b32 s11, s11, 1
	s_cmp_lt_u32 s2, s3
	s_cselect_b32 s3, s14, s11
	s_cselect_b32 s12, s12, s13
	s_cvt_f32_i32 s3, s3
	s_cmp_neq_f32 s12, 1.0
	s_delay_alu instid0(SALU_CYCLE_2) | instskip(NEXT) | instid1(SALU_CYCLE_1)
	s_cselect_b32 s11, s3, 1.0
	s_cmp_neq_f32 s11, 0
	s_cselect_b32 s3, s12, 1.0
	s_delay_alu instid0(SALU_CYCLE_1) | instskip(NEXT) | instid1(VALU_DEP_1)
	v_cvt_f64_f32_e64 v[2:3], |s3|
	v_frexp_exp_i32_f64_e32 v1, v[2:3]
	v_frexp_mant_f32_e64 v2, |s3|
	s_delay_alu instid0(VALU_DEP_1) | instskip(SKIP_2) | instid1(SALU_CYCLE_1)
	v_readfirstlane_b32 s12, v2
	s_cmp_lt_f32 s12, 0x3f2aaaab
	s_cselect_b32 vcc_lo, -1, 0
	s_and_b32 s13, vcc_lo, exec_lo
	s_cselect_b32 s13, 2.0, 1.0
	s_delay_alu instid0(SALU_CYCLE_1) | instskip(NEXT) | instid1(SALU_CYCLE_3)
	s_mul_f32 s12, s12, s13
	s_add_f32 s13, s12, 1.0
	s_add_f32 s15, s12, -1.0
	s_delay_alu instid0(SALU_CYCLE_2) | instskip(SKIP_2) | instid1(SALU_CYCLE_2)
	v_s_rcp_f32 s14, s13
	s_add_f32 s18, s13, -1.0
	v_subrev_co_ci_u32_e64 v1, null, 0, v1, vcc_lo
	s_sub_f32 s12, s12, s18
	s_delay_alu instid0(TRANS32_DEP_1) | instskip(SKIP_1) | instid1(SALU_CYCLE_2)
	s_mul_f32 s16, s15, s14
	v_cvt_f32_i32_e32 v1, v1
	s_mul_f32 s17, s13, s16
	s_delay_alu instid0(SALU_CYCLE_3) | instskip(SKIP_1) | instid1(SALU_CYCLE_1)
	v_dual_mov_b32 v3, s15 :: v_dual_mov_b32 v4, s17
	s_xor_b32 s19, s17, 0x80000000
	s_fmac_f32 s19, s16, s13
	s_delay_alu instid0(SALU_CYCLE_3) | instskip(NEXT) | instid1(SALU_CYCLE_3)
	s_fmac_f32 s19, s16, s12
	s_add_f32 s12, s17, s19
	v_mov_b32_e32 v6, s19
	s_mov_b32 s17, 0x3e76c4e1
	s_delay_alu instid0(SALU_CYCLE_1) | instskip(SKIP_1) | instid1(SALU_CYCLE_2)
	s_sub_f32 s13, s15, s12
	v_dual_mov_b32 v2, s12 :: v_dual_mov_b32 v7, s12
	v_mov_b32_e32 v5, s13
	s_delay_alu instid0(VALU_DEP_1) | instskip(NEXT) | instid1(VALU_DEP_1)
	v_pk_add_f32 v[2:3], v[2:3], v[4:5] neg_lo:[0,1] neg_hi:[0,1]
	v_pk_add_f32 v[2:3], v[2:3], v[6:7] neg_lo:[0,1] neg_hi:[0,1]
	s_delay_alu instid0(VALU_DEP_1) | instskip(NEXT) | instid1(VALU_DEP_2)
	v_readfirstlane_b32 s12, v3
	v_readfirstlane_b32 s15, v2
	s_add_f32 s12, s15, s12
	s_delay_alu instid0(SALU_CYCLE_3) | instskip(NEXT) | instid1(SALU_CYCLE_3)
	s_add_f32 s12, s13, s12
	s_mul_f32 s13, s14, s12
	s_delay_alu instid0(SALU_CYCLE_3) | instskip(NEXT) | instid1(SALU_CYCLE_3)
	s_add_f32 s12, s16, s13
	s_sub_f32 s14, s12, s16
	s_mul_f32 s15, s12, s12
	s_delay_alu instid0(SALU_CYCLE_2) | instskip(NEXT) | instid1(SALU_CYCLE_2)
	s_sub_f32 s16, s13, s14
	s_xor_b32 s13, s15, 0x80000000
	s_delay_alu instid0(SALU_CYCLE_1) | instskip(NEXT) | instid1(SALU_CYCLE_1)
	s_fmac_f32 s13, s12, s12
	s_add_f32 s14, s16, s16
	s_delay_alu instid0(SALU_CYCLE_3) | instskip(NEXT) | instid1(SALU_CYCLE_3)
	s_fmac_f32 s13, s12, s14
	s_add_f32 s14, s15, s13
	s_delay_alu instid0(SALU_CYCLE_3) | instskip(SKIP_1) | instid1(SALU_CYCLE_2)
	s_fmaak_f32 s17, s14, s17, 0x3e91f4c4
	s_sub_f32 s15, s14, s15
	s_fmaak_f32 s17, s14, s17, 0x3ecccdef
	s_delay_alu instid0(SALU_CYCLE_2) | instskip(NEXT) | instid1(SALU_CYCLE_2)
	s_sub_f32 s23, s13, s15
	s_mul_f32 s18, s14, s17
	s_delay_alu instid0(SALU_CYCLE_3) | instskip(NEXT) | instid1(SALU_CYCLE_1)
	s_xor_b32 s19, s18, 0x80000000
	s_fmac_f32 s19, s14, s17
	s_delay_alu instid0(SALU_CYCLE_3) | instskip(NEXT) | instid1(SALU_CYCLE_3)
	s_fmac_f32 s19, s23, s17
	s_add_f32 s15, s18, s19
	s_delay_alu instid0(SALU_CYCLE_3) | instskip(SKIP_1) | instid1(SALU_CYCLE_2)
	s_sub_f32 s13, s15, s18
	s_add_f32 s17, s15, 0x3f2aaaaa
	s_sub_f32 s13, s19, s13
	s_delay_alu instid0(SALU_CYCLE_2) | instskip(NEXT) | instid1(SALU_CYCLE_2)
	s_add_f32 s18, s17, 0xbf2aaaaa
	s_add_f32 s13, s13, 0x31739010
	s_delay_alu instid0(SALU_CYCLE_2) | instskip(NEXT) | instid1(SALU_CYCLE_2)
	s_sub_f32 s15, s15, s18
	v_mov_b64_e32 v[2:3], s[12:13]
	s_delay_alu instid0(SALU_CYCLE_2) | instskip(NEXT) | instid1(VALU_DEP_1)
	v_mov_b64_e32 v[4:5], s[14:15]
	v_pk_mul_f32 v[6:7], v[2:3], v[4:5]
	v_pk_add_f32 v[2:3], v[2:3], v[4:5]
	v_mov_b32_e32 v9, s17
	s_delay_alu instid0(VALU_DEP_3) | instskip(NEXT) | instid1(VALU_DEP_3)
	v_xor_b32_e32 v8, 0x80000000, v6
	v_mov_b32_e32 v7, v3
	s_delay_alu instid0(VALU_DEP_2) | instskip(NEXT) | instid1(VALU_DEP_1)
	v_fmac_f32_e64 v8, s14, s12
	v_fmac_f32_e64 v8, s14, s16
	s_delay_alu instid0(VALU_DEP_1) | instskip(NEXT) | instid1(VALU_DEP_1)
	v_fmac_f32_e64 v8, s23, s12
	v_pk_add_f32 v[4:5], v[6:7], v[8:9]
	s_delay_alu instid0(VALU_DEP_1) | instskip(SKIP_1) | instid1(VALU_DEP_2)
	v_dual_mov_b32 v2, v5 :: v_dual_sub_f32 v7, s17, v5
	v_mul_f32_e32 v12, 0x3f317218, v1
	v_pk_mul_f32 v[10:11], v[4:5], v[2:3]
	s_delay_alu instid0(VALU_DEP_3) | instskip(NEXT) | instid1(VALU_DEP_3)
	v_add_f32_e32 v3, v3, v7
	v_xor_b32_e32 v7, 0x80000000, v12
	s_delay_alu instid0(VALU_DEP_3) | instskip(NEXT) | instid1(VALU_DEP_2)
	v_xor_b32_e32 v2, 0x80000000, v10
	v_dual_sub_f32 v6, v4, v6 :: v_dual_fmac_f32 v7, 0x3f317218, v1
	s_delay_alu instid0(VALU_DEP_2) | instskip(NEXT) | instid1(VALU_DEP_2)
	v_fmac_f32_e32 v2, v4, v5
	v_sub_f32_e32 v6, v8, v6
	s_delay_alu instid0(VALU_DEP_2) | instskip(NEXT) | instid1(VALU_DEP_1)
	v_fmac_f32_e32 v2, v4, v3
	v_fmac_f32_e32 v2, v6, v5
	v_fmamk_f32 v4, v1, 0xb102e308, v7
	v_ldexp_f32 v5, s12, 1
	v_ldexp_f32 v1, s16, 1
	s_delay_alu instid0(VALU_DEP_2) | instskip(NEXT) | instid1(VALU_DEP_1)
	v_dual_add_f32 v13, v10, v2 :: v_dual_mov_b32 v11, v5
	v_pk_add_f32 v[6:7], v[12:13], v[4:5]
	v_dual_mov_b32 v8, v13 :: v_dual_mov_b32 v3, v13
	s_delay_alu instid0(VALU_DEP_2) | instskip(SKIP_1) | instid1(VALU_DEP_2)
	v_dual_mov_b32 v9, v7 :: v_dual_mov_b32 v5, v6
	v_mov_b32_e32 v14, v7
	v_pk_add_f32 v[8:9], v[8:9], v[10:11] neg_lo:[0,1] neg_hi:[0,1]
	s_delay_alu instid0(VALU_DEP_1) | instskip(NEXT) | instid1(VALU_DEP_1)
	v_pk_add_f32 v[2:3], v[2:3], v[8:9] neg_lo:[0,1] neg_hi:[0,1]
	v_add_f32_e32 v1, v1, v2
	s_delay_alu instid0(VALU_DEP_1) | instskip(NEXT) | instid1(VALU_DEP_1)
	v_add_f32_e32 v13, v1, v3
	v_pk_add_f32 v[2:3], v[6:7], v[12:13]
	v_pk_add_f32 v[8:9], v[6:7], v[12:13] neg_lo:[0,1] neg_hi:[0,1]
	s_delay_alu instid0(VALU_DEP_2) | instskip(NEXT) | instid1(VALU_DEP_1)
	v_mov_b32_e32 v9, v3
	v_pk_add_f32 v[10:11], v[4:5], v[8:9]
	v_pk_add_f32 v[4:5], v[4:5], v[8:9] neg_lo:[0,1] neg_hi:[0,1]
	v_dual_mov_b32 v16, v3 :: v_dual_mov_b32 v5, v6
	s_delay_alu instid0(VALU_DEP_3) | instskip(NEXT) | instid1(VALU_DEP_3)
	v_dual_mov_b32 v12, v11 :: v_dual_mov_b32 v17, v11
	v_readfirstlane_b32 s12, v4
	s_delay_alu instid0(VALU_DEP_2) | instskip(NEXT) | instid1(VALU_DEP_2)
	v_pk_add_f32 v[8:9], v[12:13], v[6:7] neg_lo:[0,1] neg_hi:[0,1]
	v_dual_mov_b32 v4, v13 :: v_dual_mov_b32 v10, s12
	s_delay_alu instid0(VALU_DEP_2) | instskip(NEXT) | instid1(VALU_DEP_1)
	v_dual_mov_b32 v15, v8 :: v_dual_mov_b32 v1, v8
	v_pk_add_f32 v[6:7], v[16:17], v[14:15] neg_lo:[0,1] neg_hi:[0,1]
	s_delay_alu instid0(VALU_DEP_2) | instskip(SKIP_1) | instid1(VALU_DEP_3)
	v_pk_add_f32 v[2:3], v[2:3], v[0:1] neg_lo:[0,1] neg_hi:[0,1]
	v_mov_b32_e32 v2, s12
	v_pk_add_f32 v[4:5], v[4:5], v[6:7] neg_lo:[0,1] neg_hi:[0,1]
	s_delay_alu instid0(VALU_DEP_1) | instskip(NEXT) | instid1(VALU_DEP_1)
	v_pk_add_f32 v[2:3], v[2:3], v[4:5]
	v_readfirstlane_b32 s13, v2
	s_delay_alu instid0(VALU_DEP_2) | instskip(NEXT) | instid1(VALU_DEP_1)
	v_mov_b32_e32 v6, v3
	v_pk_add_f32 v[6:7], v[2:3], v[6:7]
	s_delay_alu instid0(VALU_DEP_3) | instskip(NEXT) | instid1(VALU_DEP_2)
	v_mov_b32_e32 v2, s13
	v_pk_add_f32 v[8:9], v[12:13], v[6:7]
	v_mov_b32_e32 v5, v6
	s_delay_alu instid0(VALU_DEP_2) | instskip(NEXT) | instid1(VALU_DEP_1)
	v_readfirstlane_b32 s14, v8
	v_mov_b32_e32 v3, s14
	s_delay_alu instid0(VALU_DEP_1) | instskip(NEXT) | instid1(VALU_DEP_1)
	v_pk_add_f32 v[2:3], v[2:3], v[10:11] neg_lo:[0,1] neg_hi:[0,1]
	v_readfirstlane_b32 s15, v2
	s_delay_alu instid0(VALU_DEP_2) | instskip(SKIP_1) | instid1(VALU_DEP_1)
	v_pk_add_f32 v[2:3], v[4:5], v[2:3] neg_lo:[0,1] neg_hi:[0,1]
	s_sub_f32 s13, s13, s15
	v_readfirstlane_b32 s15, v2
	s_delay_alu instid0(SALU_CYCLE_2) | instskip(SKIP_1) | instid1(SALU_CYCLE_2)
	s_sub_f32 s12, s12, s13
	v_readfirstlane_b32 s13, v3
	s_add_f32 s12, s15, s12
	s_delay_alu instid0(SALU_CYCLE_3) | instskip(NEXT) | instid1(SALU_CYCLE_3)
	s_add_f32 s12, s12, s13
	s_add_f32 s13, s14, s12
	s_delay_alu instid0(SALU_CYCLE_3) | instskip(SKIP_1) | instid1(SALU_CYCLE_2)
	s_mul_f32 s15, s11, s13
	s_sub_f32 s14, s13, s14
	s_xor_b32 s16, s15, 0x80000000
	s_delay_alu instid0(SALU_CYCLE_2) | instskip(SKIP_1) | instid1(SALU_CYCLE_3)
	s_sub_f32 s12, s12, s14
	s_fmac_f32 s16, s11, s13
	s_fmac_f32 s16, s11, s12
	v_cmp_class_f32_e64 s12, s15, 0x204
	s_delay_alu instid0(SALU_CYCLE_2) | instskip(SKIP_1) | instid1(SALU_CYCLE_2)
	s_add_f32 s13, s15, s16
	s_and_b32 s12, s12, exec_lo
	s_sub_f32 s12, s13, s15
	s_cselect_b32 s13, s15, s13
	s_delay_alu instid0(SALU_CYCLE_1) | instskip(NEXT) | instid1(SALU_CYCLE_1)
	s_and_b32 s14, s13, 0x7fffffff
	s_sub_f32 s12, s16, s12
	s_cmp_neq_f32 s14, 0x7f800000
	s_delay_alu instid0(SALU_CYCLE_2) | instskip(SKIP_2) | instid1(SALU_CYCLE_1)
	s_cselect_b32 s12, s12, 0
	s_cmp_eq_f32 s13, 0x42b17218
	s_cselect_b32 s14, 0x37000000, 0
	s_sub_f32 s13, s13, s14
	s_add_f32 s12, s14, s12
	s_delay_alu instid0(SALU_CYCLE_2) | instskip(NEXT) | instid1(SALU_CYCLE_3)
	s_mul_f32 s15, s13, 0x3fb8aa3b
	s_xor_b32 s16, s15, 0x80000000
	s_rndne_f32 s17, s15
	s_fmamk_f32 s16, s13, 0x3fb8aa3b, s16
	s_cmp_nlt_f32 s13, 0xc2ce8ed0
	s_delay_alu instid0(SALU_CYCLE_1) | instskip(NEXT) | instid1(SALU_CYCLE_1)
	s_sub_f32 s15, s15, s17
	s_fmamk_f32 s16, s13, 0x32a5705f, s16
	s_cselect_b32 vcc_lo, -1, 0
	s_cmp_ngt_f32 s13, 0x42b17218
	s_trunc_f32 s13, s11
	s_add_f32 s15, s15, s16
	s_cvt_i32_f32 s16, s17
	s_delay_alu instid0(SALU_CYCLE_2)
	v_s_exp_f32 s15, s15
	v_nop
	s_delay_alu instid0(TRANS32_DEP_1) | instid1(SALU_CYCLE_1)
	v_ldexp_f32 v1, s15, s16
	s_mul_f32 s15, s11, 0.5
	s_delay_alu instid0(VALU_DEP_1) | instskip(SKIP_3) | instid1(VALU_DEP_1)
	v_cndmask_b32_e32 v1, 0, v1, vcc_lo
	s_cselect_b32 vcc_lo, -1, 0
	s_cmp_eq_f32 s13, s11
	s_trunc_f32 s16, s15
	v_cndmask_b32_e32 v1, 0x7f800000, v1, vcc_lo
	s_cselect_b32 s17, -1, 0
	s_delay_alu instid0(SALU_CYCLE_1) | instskip(NEXT) | instid1(VALU_DEP_1)
	s_cmp_neq_f32 s16, s15
	v_fma_f32 v2, s12, v1, v1
	v_cmp_class_f32_e64 vcc_lo, v1, 0x204
	s_cselect_b32 s14, -1, 0
	s_delay_alu instid0(SALU_CYCLE_1)
	s_and_b32 s12, s17, s14
	v_cndmask_b32_e32 v1, v2, v1, vcc_lo
	s_and_b32 s14, s12, exec_lo
	s_cselect_b32 s14, s3, 1.0
	s_cmp_eq_f32 s13, s11
	v_cmp_class_f32_e64 s13, s3, 0x204
	v_bfi_b32 v1, 0x7fffffff, v1, s14
	s_cselect_b32 vcc_lo, -1, 0
	s_cmp_lt_f32 s3, 0
	s_delay_alu instid0(VALU_DEP_1) | instskip(SKIP_2) | instid1(VALU_DEP_1)
	v_cndmask_b32_e32 v2, 0x7fc00000, v1, vcc_lo
	s_cselect_b32 vcc_lo, -1, 0
	s_cmp_eq_f32 s3, 0
	v_cndmask_b32_e32 v1, v1, v2, vcc_lo
	s_cselect_b32 s14, -1, 0
	s_delay_alu instid0(SALU_CYCLE_1) | instskip(SKIP_2) | instid1(SALU_CYCLE_1)
	s_or_b32 vcc_lo, s14, s13
	s_cmp_lt_f32 s11, 0
	s_cselect_b32 s11, -1, 0
	s_xor_b32 s11, s11, s14
	s_delay_alu instid0(SALU_CYCLE_1)
	s_and_b32 s11, s11, exec_lo
	s_cselect_b32 s11, 0, 0x7f800000
	s_and_b32 s12, s12, exec_lo
	s_cselect_b32 s12, s3, 0
	s_cmp_o_f32 s3, s3
	v_mov_b32_e32 v2, s12
	s_delay_alu instid0(VALU_DEP_1) | instskip(NEXT) | instid1(VALU_DEP_1)
	v_bfi_b32 v2, 0x7fffffff, s11, v2
	v_cndmask_b32_e32 v1, v1, v2, vcc_lo
	s_cselect_b32 vcc_lo, -1, 0
	s_delay_alu instid0(VALU_DEP_1)
	v_cndmask_b32_e32 v1, 0x7fc00000, v1, vcc_lo
.LBB11_8:
	s_load_b256 s[12:19], s[0:1], 0x0
	s_wait_kmcnt 0x0
	s_cmp_lg_u64 s[16:17], 0
	s_cselect_b32 s3, -1, 0
	s_cmp_eq_u64 s[16:17], 0
	s_cbranch_scc1 .LBB11_12
; %bb.9:
	s_load_b32 s11, s[16:17], s2 offset:0x0 scale_offset
	s_branch .LBB11_13
.LBB11_10:
                                        ; implicit-def: $sgpr20_sgpr21
	s_branch .LBB11_2
.LBB11_11:
                                        ; implicit-def: $sgpr24_sgpr25
	s_branch .LBB11_5
.LBB11_12:
	s_mov_b32 s11, 0xff800000
.LBB11_13:
	s_bfe_u32 s0, ttmp6, 0x4000c
	s_and_b32 s1, ttmp6, 15
	s_add_co_i32 s0, s0, 1
	v_mov_b32_e32 v2, 0
	s_mul_i32 s0, ttmp9, s0
	s_mov_b32 s23, 0
	s_add_co_i32 s1, s1, s0
	s_cmp_eq_u32 s28, 0
	s_mul_i32 s0, s27, s22
	s_cselect_b32 s22, ttmp9, s1
	s_add_co_i32 s0, s0, s2
	s_delay_alu instid0(SALU_CYCLE_1) | instskip(NEXT) | instid1(SALU_CYCLE_1)
	s_mul_i32 s0, s0, s26
	s_add_co_i32 s0, s0, s22
	s_delay_alu instid0(SALU_CYCLE_1) | instskip(NEXT) | instid1(SALU_CYCLE_1)
	s_ashr_i32 s1, s0, 31
	s_lshl_b64 s[26:27], s[0:1], 7
	s_cmp_eq_u64 s[14:15], 0
	s_add_nc_u64 s[12:13], s[12:13], s[26:27]
	global_load_b32 v3, v0, s[12:13] scale_offset
	s_wait_xcnt 0x0
	s_cselect_b32 s12, -1, 0
	s_delay_alu instid0(SALU_CYCLE_1)
	s_and_b32 vcc_lo, exec_lo, s12
	s_cbranch_vccnz .LBB11_15
; %bb.14:
	s_mul_u64 s[4:5], s[4:5], s[22:23]
	s_mul_u64 s[6:7], s[20:21], s[6:7]
	;; [unrolled: 1-line block ×3, first 2 shown]
	s_add_nc_u64 s[4:5], s[6:7], s[4:5]
	s_delay_alu instid0(SALU_CYCLE_1) | instskip(NEXT) | instid1(SALU_CYCLE_1)
	s_add_nc_u64 s[4:5], s[4:5], s[8:9]
	s_lshr_b64 s[4:5], s[4:5], 1
	s_and_b32 s6, exec_lo, s12
	s_cselect_b32 s5, 0, s5
	s_cselect_b32 s4, 0, s4
	s_delay_alu instid0(SALU_CYCLE_1) | instskip(NEXT) | instid1(SALU_CYCLE_1)
	s_lshl_b64 s[4:5], s[4:5], 1
	s_add_nc_u64 s[4:5], s[14:15], s[4:5]
	global_load_u16 v2, v0, s[4:5] scale_offset
	s_wait_loadcnt 0x0
	v_cvt_f32_f16_e32 v2, v2
	s_delay_alu instid0(VALU_DEP_1)
	v_mul_f32_e32 v2, v1, v2
.LBB11_15:
	v_mbcnt_lo_u32_b32 v1, -1, 0
	s_lshl_b64 s[0:1], s[0:1], 5
	s_wait_loadcnt 0x0
	s_delay_alu instid0(VALU_DEP_2)
	v_fmac_f32_e32 v2, s10, v3
	s_wait_kmcnt 0x0
	v_max_num_f32_e64 v3, s11, s11
	v_xor_b32_e32 v4, 16, v1
	v_xor_b32_e32 v8, 2, v1
	;; [unrolled: 1-line block ×3, first 2 shown]
	s_delay_alu instid0(VALU_DEP_4) | instskip(NEXT) | instid1(VALU_DEP_4)
	v_dual_max_num_f32 v3, v3, v2 :: v_dual_bitop2_b32 v9, 1, v1 bitop3:0x14
	v_cmp_gt_i32_e32 vcc_lo, 32, v4
	v_dual_cndmask_b32 v4, v1, v4, vcc_lo :: v_dual_bitop2_b32 v6, 8, v1 bitop3:0x14
	s_delay_alu instid0(VALU_DEP_1) | instskip(NEXT) | instid1(VALU_DEP_2)
	v_cmp_gt_i32_e32 vcc_lo, 32, v6
	v_lshlrev_b32_e32 v4, 2, v4
	ds_bpermute_b32 v5, v4, v3
	s_wait_dscnt 0x0
	v_max_num_f32_e32 v5, v5, v5
	v_cndmask_b32_e32 v6, v1, v6, vcc_lo
	v_cmp_gt_i32_e32 vcc_lo, 32, v7
	s_delay_alu instid0(VALU_DEP_2)
	v_dual_max_num_f32 v3, v3, v5 :: v_dual_lshlrev_b32 v6, 2, v6
	ds_bpermute_b32 v5, v6, v3
	s_wait_dscnt 0x0
	v_max_num_f32_e32 v5, v5, v5
	v_cndmask_b32_e32 v7, v1, v7, vcc_lo
	v_cmp_gt_i32_e32 vcc_lo, 32, v8
	s_delay_alu instid0(VALU_DEP_2) | instskip(SKIP_4) | instid1(VALU_DEP_1)
	v_dual_max_num_f32 v3, v3, v5 :: v_dual_lshlrev_b32 v7, 2, v7
	v_cndmask_b32_e32 v8, v1, v8, vcc_lo
	v_cmp_gt_i32_e32 vcc_lo, 32, v9
	ds_bpermute_b32 v5, v7, v3
	v_dual_cndmask_b32 v1, v1, v9 :: v_dual_lshlrev_b32 v8, 2, v8
	v_lshlrev_b32_e32 v9, 2, v1
	s_wait_dscnt 0x0
	v_max_num_f32_e32 v5, v5, v5
	s_delay_alu instid0(VALU_DEP_1) | instskip(SKIP_3) | instid1(VALU_DEP_1)
	v_max_num_f32_e32 v3, v3, v5
	ds_bpermute_b32 v5, v8, v3
	s_wait_dscnt 0x0
	v_max_num_f32_e32 v5, v5, v5
	v_max_num_f32_e32 v1, v3, v5
	ds_bpermute_b32 v3, v9, v1
	s_wait_dscnt 0x0
	v_max_num_f32_e32 v3, v3, v3
	s_delay_alu instid0(VALU_DEP_1) | instskip(NEXT) | instid1(VALU_DEP_1)
	v_max_num_f32_e32 v3, v1, v3
	v_sub_f32_e32 v1, v2, v3
	s_delay_alu instid0(VALU_DEP_1) | instskip(SKIP_1) | instid1(VALU_DEP_2)
	v_mul_f32_e32 v2, 0x3fb8aa3b, v1
	v_cmp_ngt_f32_e32 vcc_lo, 0xc2ce8ed0, v1
	v_fma_f32 v5, 0x3fb8aa3b, v1, -v2
	v_rndne_f32_e32 v10, v2
	s_delay_alu instid0(VALU_DEP_1) | instskip(NEXT) | instid1(VALU_DEP_1)
	v_dual_fmac_f32 v5, 0x32a5705f, v1 :: v_dual_sub_f32 v2, v2, v10
	v_add_f32_e32 v2, v2, v5
	v_cvt_i32_f32_e32 v5, v10
	s_delay_alu instid0(VALU_DEP_2) | instskip(SKIP_1) | instid1(TRANS32_DEP_1)
	v_exp_f32_e32 v2, v2
	v_nop
	v_ldexp_f32 v2, v2, v5
	v_lshl_add_u32 v5, v0, 2, 0
	s_delay_alu instid0(VALU_DEP_2) | instskip(SKIP_1) | instid1(VALU_DEP_2)
	v_cndmask_b32_e32 v2, 0, v2, vcc_lo
	v_cmp_nlt_f32_e32 vcc_lo, 0x42b17218, v1
	v_cndmask_b32_e32 v1, 0x7f800000, v2, vcc_lo
	s_and_not1_b32 vcc_lo, exec_lo, s3
	ds_bpermute_b32 v2, v4, v1
	s_wait_dscnt 0x0
	v_add_f32_e32 v2, v1, v2
	ds_bpermute_b32 v4, v6, v2
	s_wait_dscnt 0x0
	v_add_f32_e32 v2, v2, v4
	ds_store_b32 v5, v1 offset:128
	ds_bpermute_b32 v4, v7, v2
	s_wait_dscnt 0x0
	v_add_f32_e32 v2, v2, v4
	ds_bpermute_b32 v4, v8, v2
	s_wait_dscnt 0x0
	v_add_f32_e32 v2, v2, v4
	;; [unrolled: 3-line block ×3, first 2 shown]
	s_cbranch_vccnz .LBB11_17
; %bb.16:
	s_load_b32 s2, s[16:17], s2 offset:0x0 scale_offset
	s_wait_kmcnt 0x0
	v_sub_f32_e32 v3, s2, v3
	s_delay_alu instid0(VALU_DEP_1) | instskip(NEXT) | instid1(VALU_DEP_1)
	v_mul_f32_e32 v4, 0x3fb8aa3b, v3
	v_fma_f32 v5, 0x3fb8aa3b, v3, -v4
	v_rndne_f32_e32 v6, v4
	s_delay_alu instid0(VALU_DEP_1) | instskip(SKIP_1) | instid1(VALU_DEP_4)
	v_sub_f32_e32 v4, v4, v6
	v_cmp_ngt_f32_e32 vcc_lo, 0xc2ce8ed0, v3
	v_fmac_f32_e32 v5, 0x32a5705f, v3
	s_delay_alu instid0(VALU_DEP_1) | instskip(SKIP_1) | instid1(VALU_DEP_2)
	v_add_f32_e32 v4, v4, v5
	v_cvt_i32_f32_e32 v5, v6
	v_exp_f32_e32 v4, v4
	v_nop
	s_delay_alu instid0(TRANS32_DEP_1) | instskip(NEXT) | instid1(VALU_DEP_1)
	v_ldexp_f32 v4, v4, v5
	v_cndmask_b32_e32 v4, 0, v4, vcc_lo
	v_cmp_nlt_f32_e32 vcc_lo, 0x42b17218, v3
	s_delay_alu instid0(VALU_DEP_2) | instskip(NEXT) | instid1(VALU_DEP_1)
	v_cndmask_b32_e32 v3, 0x7f800000, v4, vcc_lo
	v_add_f32_e32 v2, v2, v3
.LBB11_17:
	s_delay_alu instid0(VALU_DEP_1) | instskip(SKIP_1) | instid1(SALU_CYCLE_1)
	v_div_scale_f32 v3, null, v2, v2, 1.0
	s_lshl_b64 s[0:1], s[0:1], 2
	s_add_nc_u64 s[0:1], s[18:19], s[0:1]
	v_rcp_f32_e32 v4, v3
	v_nop
	s_delay_alu instid0(TRANS32_DEP_1) | instskip(NEXT) | instid1(VALU_DEP_1)
	v_fma_f32 v5, -v3, v4, 1.0
	v_fmac_f32_e32 v4, v5, v4
	v_div_scale_f32 v5, vcc_lo, 1.0, v2, 1.0
	s_delay_alu instid0(VALU_DEP_1) | instskip(NEXT) | instid1(VALU_DEP_1)
	v_mul_f32_e32 v6, v5, v4
	v_fma_f32 v7, -v3, v6, v5
	s_delay_alu instid0(VALU_DEP_1) | instskip(NEXT) | instid1(VALU_DEP_1)
	v_fmac_f32_e32 v6, v7, v4
	v_fma_f32 v3, -v3, v6, v5
	s_delay_alu instid0(VALU_DEP_1) | instskip(NEXT) | instid1(VALU_DEP_1)
	v_div_fmas_f32 v3, v3, v4, v6
	v_div_fixup_f32 v2, v3, v2, 1.0
	s_delay_alu instid0(VALU_DEP_1)
	v_mul_f32_e32 v1, v2, v1
	global_store_b32 v0, v1, s[0:1] scale_offset
	s_endpgm
	.section	.rodata,"a",@progbits
	.p2align	6, 0x0
	.amdhsa_kernel _ZL12soft_max_f32ILb1ELi32ELi32E6__halfEvPKfPKT2_S2_Pf15soft_max_params
		.amdhsa_group_segment_fixed_size 0
		.amdhsa_private_segment_fixed_size 0
		.amdhsa_kernarg_size 416
		.amdhsa_user_sgpr_count 2
		.amdhsa_user_sgpr_dispatch_ptr 0
		.amdhsa_user_sgpr_queue_ptr 0
		.amdhsa_user_sgpr_kernarg_segment_ptr 1
		.amdhsa_user_sgpr_dispatch_id 0
		.amdhsa_user_sgpr_kernarg_preload_length 0
		.amdhsa_user_sgpr_kernarg_preload_offset 0
		.amdhsa_user_sgpr_private_segment_size 0
		.amdhsa_wavefront_size32 1
		.amdhsa_uses_dynamic_stack 0
		.amdhsa_enable_private_segment 0
		.amdhsa_system_sgpr_workgroup_id_x 1
		.amdhsa_system_sgpr_workgroup_id_y 1
		.amdhsa_system_sgpr_workgroup_id_z 1
		.amdhsa_system_sgpr_workgroup_info 0
		.amdhsa_system_vgpr_workitem_id 0
		.amdhsa_next_free_vgpr 18
		.amdhsa_next_free_sgpr 36
		.amdhsa_named_barrier_count 0
		.amdhsa_reserve_vcc 1
		.amdhsa_float_round_mode_32 0
		.amdhsa_float_round_mode_16_64 0
		.amdhsa_float_denorm_mode_32 3
		.amdhsa_float_denorm_mode_16_64 3
		.amdhsa_fp16_overflow 0
		.amdhsa_memory_ordered 1
		.amdhsa_forward_progress 1
		.amdhsa_inst_pref_size 31
		.amdhsa_round_robin_scheduling 0
		.amdhsa_exception_fp_ieee_invalid_op 0
		.amdhsa_exception_fp_denorm_src 0
		.amdhsa_exception_fp_ieee_div_zero 0
		.amdhsa_exception_fp_ieee_overflow 0
		.amdhsa_exception_fp_ieee_underflow 0
		.amdhsa_exception_fp_ieee_inexact 0
		.amdhsa_exception_int_div_zero 0
	.end_amdhsa_kernel
	.section	.text._ZL12soft_max_f32ILb1ELi32ELi32E6__halfEvPKfPKT2_S2_Pf15soft_max_params,"axG",@progbits,_ZL12soft_max_f32ILb1ELi32ELi32E6__halfEvPKfPKT2_S2_Pf15soft_max_params,comdat
.Lfunc_end11:
	.size	_ZL12soft_max_f32ILb1ELi32ELi32E6__halfEvPKfPKT2_S2_Pf15soft_max_params, .Lfunc_end11-_ZL12soft_max_f32ILb1ELi32ELi32E6__halfEvPKfPKT2_S2_Pf15soft_max_params
                                        ; -- End function
	.set _ZL12soft_max_f32ILb1ELi32ELi32E6__halfEvPKfPKT2_S2_Pf15soft_max_params.num_vgpr, 18
	.set _ZL12soft_max_f32ILb1ELi32ELi32E6__halfEvPKfPKT2_S2_Pf15soft_max_params.num_agpr, 0
	.set _ZL12soft_max_f32ILb1ELi32ELi32E6__halfEvPKfPKT2_S2_Pf15soft_max_params.numbered_sgpr, 36
	.set _ZL12soft_max_f32ILb1ELi32ELi32E6__halfEvPKfPKT2_S2_Pf15soft_max_params.num_named_barrier, 0
	.set _ZL12soft_max_f32ILb1ELi32ELi32E6__halfEvPKfPKT2_S2_Pf15soft_max_params.private_seg_size, 0
	.set _ZL12soft_max_f32ILb1ELi32ELi32E6__halfEvPKfPKT2_S2_Pf15soft_max_params.uses_vcc, 1
	.set _ZL12soft_max_f32ILb1ELi32ELi32E6__halfEvPKfPKT2_S2_Pf15soft_max_params.uses_flat_scratch, 0
	.set _ZL12soft_max_f32ILb1ELi32ELi32E6__halfEvPKfPKT2_S2_Pf15soft_max_params.has_dyn_sized_stack, 0
	.set _ZL12soft_max_f32ILb1ELi32ELi32E6__halfEvPKfPKT2_S2_Pf15soft_max_params.has_recursion, 0
	.set _ZL12soft_max_f32ILb1ELi32ELi32E6__halfEvPKfPKT2_S2_Pf15soft_max_params.has_indirect_call, 0
	.section	.AMDGPU.csdata,"",@progbits
; Kernel info:
; codeLenInByte = 3960
; TotalNumSgprs: 38
; NumVgprs: 18
; ScratchSize: 0
; MemoryBound: 0
; FloatMode: 240
; IeeeMode: 1
; LDSByteSize: 0 bytes/workgroup (compile time only)
; SGPRBlocks: 0
; VGPRBlocks: 1
; NumSGPRsForWavesPerEU: 38
; NumVGPRsForWavesPerEU: 18
; NamedBarCnt: 0
; Occupancy: 16
; WaveLimiterHint : 1
; COMPUTE_PGM_RSRC2:SCRATCH_EN: 0
; COMPUTE_PGM_RSRC2:USER_SGPR: 2
; COMPUTE_PGM_RSRC2:TRAP_HANDLER: 0
; COMPUTE_PGM_RSRC2:TGID_X_EN: 1
; COMPUTE_PGM_RSRC2:TGID_Y_EN: 1
; COMPUTE_PGM_RSRC2:TGID_Z_EN: 1
; COMPUTE_PGM_RSRC2:TIDIG_COMP_CNT: 0
	.section	.text._ZL12soft_max_f32ILb1ELi0ELi0E6__halfEvPKfPKT2_S2_Pf15soft_max_params,"axG",@progbits,_ZL12soft_max_f32ILb1ELi0ELi0E6__halfEvPKfPKT2_S2_Pf15soft_max_params,comdat
	.globl	_ZL12soft_max_f32ILb1ELi0ELi0E6__halfEvPKfPKT2_S2_Pf15soft_max_params ; -- Begin function _ZL12soft_max_f32ILb1ELi0ELi0E6__halfEvPKfPKT2_S2_Pf15soft_max_params
	.p2align	8
	.type	_ZL12soft_max_f32ILb1ELi0ELi0E6__halfEvPKfPKT2_S2_Pf15soft_max_params,@function
_ZL12soft_max_f32ILb1ELi0ELi0E6__halfEvPKfPKT2_S2_Pf15soft_max_params: ; @_ZL12soft_max_f32ILb1ELi0ELi0E6__halfEvPKfPKT2_S2_Pf15soft_max_params
; %bb.0:
	s_clause 0x1
	s_load_b256 s[4:11], s[0:1], 0x68
	s_load_b64 s[16:17], s[0:1], 0x88
	s_bfe_u32 s2, ttmp6, 0x40010
	s_and_b32 s3, ttmp7, 0xffff
	s_add_co_i32 s2, s2, 1
	s_bfe_u32 s12, ttmp6, 0x40004
	s_mul_i32 s2, s3, s2
	s_getreg_b32 s30, hwreg(HW_REG_IB_STS2, 6, 4)
	s_add_co_i32 s12, s12, s2
	s_cmp_eq_u32 s30, 0
	s_mov_b32 s29, 0
	s_cselect_b32 s28, s3, s12
	s_mov_b32 s32, 0
	s_wait_kmcnt 0x0
	s_and_b64 s[2:3], s[10:11], 0xffffffff00000000
	s_delay_alu instid0(SALU_CYCLE_1)
	s_cmp_lg_u64 s[2:3], 0
	s_cbranch_scc0 .LBB12_10
; %bb.1:
	s_ashr_i32 s2, s11, 31
	s_mov_b32 s19, s29
	s_mov_b32 s3, s2
	;; [unrolled: 1-line block ×3, first 2 shown]
	s_add_nc_u64 s[12:13], s[10:11], s[2:3]
	s_delay_alu instid0(SALU_CYCLE_1) | instskip(NEXT) | instid1(SALU_CYCLE_1)
	s_xor_b64 s[2:3], s[12:13], s[2:3]
	s_cvt_f32_u32 s11, s2
	s_cvt_f32_u32 s12, s3
	s_sub_nc_u64 s[14:15], 0, s[2:3]
	s_delay_alu instid0(SALU_CYCLE_2) | instskip(NEXT) | instid1(SALU_CYCLE_3)
	s_fmamk_f32 s11, s12, 0x4f800000, s11
	v_s_rcp_f32 s11, s11
	s_delay_alu instid0(TRANS32_DEP_1) | instskip(NEXT) | instid1(SALU_CYCLE_3)
	s_mul_f32 s11, s11, 0x5f7ffffc
	s_mul_f32 s12, s11, 0x2f800000
	s_delay_alu instid0(SALU_CYCLE_3) | instskip(NEXT) | instid1(SALU_CYCLE_3)
	s_trunc_f32 s12, s12
	s_fmamk_f32 s11, s12, 0xcf800000, s11
	s_cvt_u32_f32 s13, s12
	s_delay_alu instid0(SALU_CYCLE_2) | instskip(NEXT) | instid1(SALU_CYCLE_3)
	s_cvt_u32_f32 s12, s11
	s_mul_u64 s[20:21], s[14:15], s[12:13]
	s_delay_alu instid0(SALU_CYCLE_1)
	s_mul_hi_u32 s25, s12, s21
	s_mul_i32 s24, s12, s21
	s_mul_hi_u32 s18, s12, s20
	s_mul_i32 s22, s13, s20
	s_add_nc_u64 s[18:19], s[18:19], s[24:25]
	s_mul_hi_u32 s11, s13, s20
	s_mul_hi_u32 s26, s13, s21
	s_add_co_u32 s18, s18, s22
	s_add_co_ci_u32 s22, s19, s11
	s_mul_i32 s20, s13, s21
	s_add_co_ci_u32 s21, s26, 0
	s_delay_alu instid0(SALU_CYCLE_1) | instskip(SKIP_3) | instid1(SALU_CYCLE_1)
	s_add_nc_u64 s[18:19], s[22:23], s[20:21]
	s_mov_b32 s21, s29
	s_add_co_u32 s12, s12, s18
	s_cselect_b32 s11, -1, 0
	s_cmp_lg_u32 s11, 0
	s_add_co_ci_u32 s13, s13, s19
	s_mov_b32 s19, s29
	s_mul_u64 s[14:15], s[14:15], s[12:13]
	s_delay_alu instid0(SALU_CYCLE_1)
	s_mul_hi_u32 s23, s12, s15
	s_mul_i32 s22, s12, s15
	s_mul_hi_u32 s18, s12, s14
	s_mul_i32 s20, s13, s14
	s_add_nc_u64 s[18:19], s[18:19], s[22:23]
	s_mul_hi_u32 s11, s13, s14
	s_mul_hi_u32 s24, s13, s15
	s_mul_i32 s14, s13, s15
	s_add_co_u32 s15, s18, s20
	s_add_co_ci_u32 s20, s19, s11
	s_add_co_ci_u32 s15, s24, 0
	s_add_nc_u64 s[18:19], s[28:29], 0
	s_add_nc_u64 s[14:15], s[20:21], s[14:15]
	s_delay_alu instid0(SALU_CYCLE_1) | instskip(SKIP_1) | instid1(SALU_CYCLE_1)
	s_add_co_u32 s11, s12, s14
	s_cselect_b32 s12, -1, 0
	s_cmp_lg_u32 s12, 0
	s_add_co_ci_u32 s14, s13, s15
	s_xor_b64 s[12:13], s[18:19], 0
	s_mov_b32 s15, s29
	s_mul_hi_u32 s19, s12, s14
	s_mul_i32 s18, s12, s14
	s_mul_hi_u32 s20, s12, s11
	s_mul_hi_u32 s23, s13, s11
	s_mul_i32 s11, s13, s11
	s_add_nc_u64 s[18:19], s[20:21], s[18:19]
	s_mul_hi_u32 s22, s13, s14
	s_add_co_u32 s11, s18, s11
	s_mul_i32 s20, s13, s14
	s_add_co_ci_u32 s14, s19, s23
	s_add_co_ci_u32 s21, s22, 0
	s_delay_alu instid0(SALU_CYCLE_1) | instskip(NEXT) | instid1(SALU_CYCLE_1)
	s_add_nc_u64 s[14:15], s[14:15], s[20:21]
	s_and_b64 s[18:19], s[14:15], 0xffffffff00000000
	s_delay_alu instid0(SALU_CYCLE_1) | instskip(NEXT) | instid1(SALU_CYCLE_1)
	s_or_b32 s18, s18, s14
	s_mul_u64 s[14:15], s[2:3], s[18:19]
	s_delay_alu instid0(SALU_CYCLE_1)
	s_sub_co_u32 s11, s12, s14
	s_cselect_b32 s12, -1, 0
	s_sub_co_i32 s14, s13, s15
	s_cmp_lg_u32 s12, 0
	s_sub_co_ci_u32 s14, s14, s3
	s_sub_co_u32 s18, s11, s2
	s_cselect_b32 s19, -1, 0
	s_delay_alu instid0(SALU_CYCLE_1) | instskip(SKIP_1) | instid1(SALU_CYCLE_1)
	s_cmp_lg_u32 s19, 0
	s_sub_co_ci_u32 s20, s14, 0
	s_cmp_ge_u32 s20, s3
	s_cselect_b32 s21, -1, 0
	s_cmp_ge_u32 s18, s2
	s_cselect_b32 s22, -1, 0
	s_cmp_eq_u32 s20, s3
	s_cselect_b32 s21, s22, s21
	s_cmp_lg_u32 s19, 0
	s_sub_co_ci_u32 s14, s14, s3
	s_sub_co_u32 s19, s18, s2
	s_cselect_b32 s22, -1, 0
	s_delay_alu instid0(SALU_CYCLE_1)
	s_cmp_lg_u32 s22, 0
	s_sub_co_ci_u32 s14, s14, 0
	s_cmp_lg_u32 s21, 0
	s_cselect_b32 s18, s19, s18
	s_cselect_b32 s14, s14, s20
	s_cmp_lg_u32 s12, 0
	s_sub_co_ci_u32 s12, s13, s15
	s_delay_alu instid0(SALU_CYCLE_1)
	s_cmp_ge_u32 s12, s3
	s_cselect_b32 s13, -1, 0
	s_cmp_ge_u32 s11, s2
	s_cselect_b32 s2, -1, 0
	s_cmp_eq_u32 s12, s3
	s_cselect_b32 s2, s2, s13
	s_delay_alu instid0(SALU_CYCLE_1) | instskip(SKIP_2) | instid1(SALU_CYCLE_1)
	s_cmp_lg_u32 s2, 0
	s_cselect_b32 s3, s14, s12
	s_cselect_b32 s2, s18, s11
	s_xor_b64 s[2:3], s[2:3], 0
	s_delay_alu instid0(SALU_CYCLE_1)
	s_sub_nc_u64 s[12:13], s[2:3], 0
	s_and_not1_b32 vcc_lo, exec_lo, s29
	s_cbranch_vccnz .LBB12_3
.LBB12_2:
	v_cvt_f32_u32_e32 v1, s10
	s_sub_co_i32 s3, 0, s10
	s_mov_b32 s13, 0
	s_delay_alu instid0(VALU_DEP_1) | instskip(SKIP_1) | instid1(TRANS32_DEP_1)
	v_rcp_iflag_f32_e32 v1, v1
	v_nop
	v_mul_f32_e32 v1, 0x4f7ffffe, v1
	s_delay_alu instid0(VALU_DEP_1) | instskip(NEXT) | instid1(VALU_DEP_1)
	v_cvt_u32_f32_e32 v1, v1
	v_readfirstlane_b32 s2, v1
	s_mul_i32 s3, s3, s2
	s_delay_alu instid0(SALU_CYCLE_1) | instskip(NEXT) | instid1(SALU_CYCLE_1)
	s_mul_hi_u32 s3, s2, s3
	s_add_co_i32 s2, s2, s3
	s_delay_alu instid0(SALU_CYCLE_1) | instskip(NEXT) | instid1(SALU_CYCLE_1)
	s_mul_hi_u32 s2, s28, s2
	s_mul_i32 s2, s2, s10
	s_delay_alu instid0(SALU_CYCLE_1) | instskip(NEXT) | instid1(SALU_CYCLE_1)
	s_sub_co_i32 s2, s28, s2
	s_sub_co_i32 s3, s2, s10
	s_cmp_ge_u32 s2, s10
	s_cselect_b32 s2, s3, s2
	s_delay_alu instid0(SALU_CYCLE_1)
	s_sub_co_i32 s3, s2, s10
	s_cmp_ge_u32 s2, s10
	s_cselect_b32 s12, s3, s2
.LBB12_3:
	s_load_b64 s[2:3], s[0:1], 0x90
	s_bfe_u32 s10, ttmp6, 0x40014
	s_lshr_b32 s11, ttmp7, 16
	s_add_co_i32 s10, s10, 1
	s_bfe_u32 s14, ttmp6, 0x40008
	s_mul_i32 s10, s11, s10
	s_delay_alu instid0(SALU_CYCLE_1)
	s_add_co_i32 s14, s14, s10
	s_cmp_eq_u32 s30, 0
	s_cselect_b32 s10, s11, s14
	s_and_b64 s[14:15], s[16:17], 0xffffffff00000000
	s_mov_b32 s11, 0
	s_cmp_lg_u64 s[14:15], 0
	s_cbranch_scc0 .LBB12_11
; %bb.4:
	s_ashr_i32 s14, s17, 31
	s_mov_b32 s23, s11
	s_mov_b32 s15, s14
	;; [unrolled: 1-line block ×3, first 2 shown]
	s_add_nc_u64 s[18:19], s[16:17], s[14:15]
	s_delay_alu instid0(SALU_CYCLE_1) | instskip(NEXT) | instid1(SALU_CYCLE_1)
	s_xor_b64 s[14:15], s[18:19], s[14:15]
	s_cvt_f32_u32 s17, s14
	s_cvt_f32_u32 s18, s15
	s_sub_nc_u64 s[20:21], 0, s[14:15]
	s_delay_alu instid0(SALU_CYCLE_2) | instskip(NEXT) | instid1(SALU_CYCLE_3)
	s_fmamk_f32 s17, s18, 0x4f800000, s17
	v_s_rcp_f32 s17, s17
	s_delay_alu instid0(TRANS32_DEP_1) | instskip(NEXT) | instid1(SALU_CYCLE_3)
	s_mul_f32 s17, s17, 0x5f7ffffc
	s_mul_f32 s18, s17, 0x2f800000
	s_delay_alu instid0(SALU_CYCLE_3) | instskip(NEXT) | instid1(SALU_CYCLE_3)
	s_trunc_f32 s18, s18
	s_fmamk_f32 s17, s18, 0xcf800000, s17
	s_cvt_u32_f32 s19, s18
	s_delay_alu instid0(SALU_CYCLE_2) | instskip(NEXT) | instid1(SALU_CYCLE_3)
	s_cvt_u32_f32 s18, s17
	s_mul_u64 s[24:25], s[20:21], s[18:19]
	s_delay_alu instid0(SALU_CYCLE_1)
	s_mul_hi_u32 s35, s18, s25
	s_mul_i32 s34, s18, s25
	s_mul_hi_u32 s22, s18, s24
	s_mul_i32 s26, s19, s24
	s_add_nc_u64 s[22:23], s[22:23], s[34:35]
	s_mul_hi_u32 s17, s19, s24
	s_mul_hi_u32 s29, s19, s25
	s_add_co_u32 s22, s22, s26
	s_add_co_ci_u32 s26, s23, s17
	s_mul_i32 s24, s19, s25
	s_add_co_ci_u32 s25, s29, 0
	s_delay_alu instid0(SALU_CYCLE_1) | instskip(SKIP_3) | instid1(SALU_CYCLE_1)
	s_add_nc_u64 s[22:23], s[26:27], s[24:25]
	s_mov_b32 s25, s11
	s_add_co_u32 s18, s18, s22
	s_cselect_b32 s17, -1, 0
	s_cmp_lg_u32 s17, 0
	s_add_co_ci_u32 s19, s19, s23
	s_mov_b32 s23, s11
	s_mul_u64 s[20:21], s[20:21], s[18:19]
	s_delay_alu instid0(SALU_CYCLE_1)
	s_mul_hi_u32 s27, s18, s21
	s_mul_i32 s26, s18, s21
	s_mul_hi_u32 s22, s18, s20
	s_mul_i32 s24, s19, s20
	s_add_nc_u64 s[22:23], s[22:23], s[26:27]
	s_mul_hi_u32 s17, s19, s20
	s_mul_hi_u32 s29, s19, s21
	s_mul_i32 s20, s19, s21
	s_add_co_u32 s21, s22, s24
	s_add_co_ci_u32 s24, s23, s17
	s_add_co_ci_u32 s21, s29, 0
	s_add_nc_u64 s[22:23], s[10:11], 0
	s_add_nc_u64 s[20:21], s[24:25], s[20:21]
	s_delay_alu instid0(SALU_CYCLE_1) | instskip(SKIP_1) | instid1(SALU_CYCLE_1)
	s_add_co_u32 s17, s18, s20
	s_cselect_b32 s18, -1, 0
	s_cmp_lg_u32 s18, 0
	s_add_co_ci_u32 s20, s19, s21
	s_xor_b64 s[18:19], s[22:23], 0
	s_mov_b32 s21, s11
	s_mul_hi_u32 s23, s18, s20
	s_mul_i32 s22, s18, s20
	s_mul_hi_u32 s24, s18, s17
	s_mul_hi_u32 s27, s19, s17
	s_mul_i32 s17, s19, s17
	s_add_nc_u64 s[22:23], s[24:25], s[22:23]
	s_mul_hi_u32 s26, s19, s20
	s_add_co_u32 s17, s22, s17
	s_mul_i32 s24, s19, s20
	s_add_co_ci_u32 s20, s23, s27
	s_add_co_ci_u32 s25, s26, 0
	s_delay_alu instid0(SALU_CYCLE_1) | instskip(NEXT) | instid1(SALU_CYCLE_1)
	s_add_nc_u64 s[20:21], s[20:21], s[24:25]
	s_and_b64 s[22:23], s[20:21], 0xffffffff00000000
	s_delay_alu instid0(SALU_CYCLE_1) | instskip(NEXT) | instid1(SALU_CYCLE_1)
	s_or_b32 s22, s22, s20
	s_mul_u64 s[20:21], s[14:15], s[22:23]
	s_delay_alu instid0(SALU_CYCLE_1)
	s_sub_co_u32 s17, s18, s20
	s_cselect_b32 s18, -1, 0
	s_sub_co_i32 s20, s19, s21
	s_cmp_lg_u32 s18, 0
	s_sub_co_ci_u32 s20, s20, s15
	s_sub_co_u32 s22, s17, s14
	s_cselect_b32 s23, -1, 0
	s_delay_alu instid0(SALU_CYCLE_1) | instskip(SKIP_1) | instid1(SALU_CYCLE_1)
	s_cmp_lg_u32 s23, 0
	s_sub_co_ci_u32 s24, s20, 0
	s_cmp_ge_u32 s24, s15
	s_cselect_b32 s25, -1, 0
	s_cmp_ge_u32 s22, s14
	s_cselect_b32 s26, -1, 0
	s_cmp_eq_u32 s24, s15
	s_cselect_b32 s25, s26, s25
	s_cmp_lg_u32 s23, 0
	s_sub_co_ci_u32 s20, s20, s15
	s_sub_co_u32 s23, s22, s14
	s_cselect_b32 s26, -1, 0
	s_delay_alu instid0(SALU_CYCLE_1)
	s_cmp_lg_u32 s26, 0
	s_sub_co_ci_u32 s20, s20, 0
	s_cmp_lg_u32 s25, 0
	s_cselect_b32 s22, s23, s22
	s_cselect_b32 s20, s20, s24
	s_cmp_lg_u32 s18, 0
	s_sub_co_ci_u32 s18, s19, s21
	s_delay_alu instid0(SALU_CYCLE_1)
	s_cmp_ge_u32 s18, s15
	s_cselect_b32 s19, -1, 0
	s_cmp_ge_u32 s17, s14
	s_cselect_b32 s14, -1, 0
	s_cmp_eq_u32 s18, s15
	s_cselect_b32 s14, s14, s19
	s_delay_alu instid0(SALU_CYCLE_1) | instskip(SKIP_2) | instid1(SALU_CYCLE_1)
	s_cmp_lg_u32 s14, 0
	s_cselect_b32 s15, s20, s18
	s_cselect_b32 s14, s22, s17
	s_xor_b64 s[14:15], s[14:15], 0
	s_delay_alu instid0(SALU_CYCLE_1)
	s_sub_nc_u64 s[14:15], s[14:15], 0
	s_and_not1_b32 vcc_lo, exec_lo, s11
	s_cbranch_vccnz .LBB12_6
.LBB12_5:
	v_cvt_f32_u32_e32 v1, s16
	s_sub_co_i32 s14, 0, s16
	s_mov_b32 s15, 0
	s_delay_alu instid0(VALU_DEP_1) | instskip(SKIP_1) | instid1(TRANS32_DEP_1)
	v_rcp_iflag_f32_e32 v1, v1
	v_nop
	v_mul_f32_e32 v1, 0x4f7ffffe, v1
	s_delay_alu instid0(VALU_DEP_1) | instskip(NEXT) | instid1(VALU_DEP_1)
	v_cvt_u32_f32_e32 v1, v1
	v_readfirstlane_b32 s11, v1
	s_mul_i32 s14, s14, s11
	s_delay_alu instid0(SALU_CYCLE_1) | instskip(NEXT) | instid1(SALU_CYCLE_1)
	s_mul_hi_u32 s14, s11, s14
	s_add_co_i32 s11, s11, s14
	s_delay_alu instid0(SALU_CYCLE_1) | instskip(NEXT) | instid1(SALU_CYCLE_1)
	s_mul_hi_u32 s11, s10, s11
	s_mul_i32 s11, s11, s16
	s_delay_alu instid0(SALU_CYCLE_1) | instskip(NEXT) | instid1(SALU_CYCLE_1)
	s_sub_co_i32 s11, s10, s11
	s_sub_co_i32 s14, s11, s16
	s_cmp_ge_u32 s11, s16
	s_cselect_b32 s11, s14, s11
	s_delay_alu instid0(SALU_CYCLE_1)
	s_sub_co_i32 s14, s11, s16
	s_cmp_ge_u32 s11, s16
	s_cselect_b32 s14, s14, s11
.LBB12_6:
	s_clause 0x1
	s_load_b64 s[34:35], s[0:1], 0x30
	s_load_b64 s[16:17], s[0:1], 0xa0
	v_mov_b32_e32 v1, 1.0
	s_wait_kmcnt 0x0
	s_cmp_le_f32 s3, 0
	s_add_nc_u64 s[18:19], s[0:1], 0xa0
	s_cbranch_scc1 .LBB12_8
; %bb.7:
	s_clause 0x1
	s_load_b32 s3, s[0:1], 0x28
	s_load_b64 s[20:21], s[0:1], 0x98
	s_add_co_i32 s22, s28, 1
	s_wait_kmcnt 0x0
	s_sub_co_i32 s11, s28, s3
	s_delay_alu instid0(SALU_CYCLE_1) | instskip(NEXT) | instid1(SALU_CYCLE_1)
	s_lshl_b32 s11, s11, 1
	s_or_b32 s11, s11, 1
	s_cmp_lt_u32 s28, s3
	s_cselect_b32 s3, s22, s11
	s_cselect_b32 s20, s20, s21
	s_cvt_f32_i32 s3, s3
	s_cmp_neq_f32 s20, 1.0
	s_delay_alu instid0(SALU_CYCLE_2) | instskip(NEXT) | instid1(SALU_CYCLE_1)
	s_cselect_b32 s11, s3, 1.0
	s_cmp_neq_f32 s11, 0
	s_cselect_b32 s3, s20, 1.0
	s_delay_alu instid0(SALU_CYCLE_1) | instskip(NEXT) | instid1(VALU_DEP_1)
	v_cvt_f64_f32_e64 v[2:3], |s3|
	v_frexp_exp_i32_f64_e32 v1, v[2:3]
	v_frexp_mant_f32_e64 v2, |s3|
	s_delay_alu instid0(VALU_DEP_1) | instskip(SKIP_2) | instid1(SALU_CYCLE_1)
	v_readfirstlane_b32 s20, v2
	s_cmp_lt_f32 s20, 0x3f2aaaab
	s_cselect_b32 vcc_lo, -1, 0
	s_and_b32 s21, vcc_lo, exec_lo
	s_cselect_b32 s21, 2.0, 1.0
	s_delay_alu instid0(SALU_CYCLE_1) | instskip(NEXT) | instid1(SALU_CYCLE_3)
	s_mul_f32 s20, s20, s21
	s_add_f32 s21, s20, 1.0
	s_add_f32 s23, s20, -1.0
	s_delay_alu instid0(SALU_CYCLE_2) | instskip(SKIP_2) | instid1(SALU_CYCLE_2)
	v_s_rcp_f32 s22, s21
	s_add_f32 s26, s21, -1.0
	v_subrev_co_ci_u32_e64 v1, null, 0, v1, vcc_lo
	s_sub_f32 s20, s20, s26
	s_delay_alu instid0(TRANS32_DEP_1) | instskip(SKIP_1) | instid1(SALU_CYCLE_2)
	s_mul_f32 s24, s23, s22
	v_cvt_f32_i32_e32 v1, v1
	s_mul_f32 s25, s21, s24
	s_delay_alu instid0(SALU_CYCLE_3) | instskip(SKIP_1) | instid1(SALU_CYCLE_1)
	v_dual_mov_b32 v3, s23 :: v_dual_mov_b32 v4, s25
	s_xor_b32 s27, s25, 0x80000000
	s_fmac_f32 s27, s24, s21
	s_delay_alu instid0(SALU_CYCLE_3) | instskip(NEXT) | instid1(SALU_CYCLE_3)
	s_fmac_f32 s27, s24, s20
	s_add_f32 s20, s25, s27
	v_mov_b32_e32 v6, s27
	s_mov_b32 s25, 0x3e76c4e1
	s_delay_alu instid0(SALU_CYCLE_1) | instskip(SKIP_1) | instid1(SALU_CYCLE_2)
	s_sub_f32 s21, s23, s20
	v_dual_mov_b32 v2, s20 :: v_dual_mov_b32 v7, s20
	v_mov_b32_e32 v5, s21
	s_delay_alu instid0(VALU_DEP_1) | instskip(NEXT) | instid1(VALU_DEP_1)
	v_pk_add_f32 v[2:3], v[2:3], v[4:5] neg_lo:[0,1] neg_hi:[0,1]
	v_pk_add_f32 v[2:3], v[2:3], v[6:7] neg_lo:[0,1] neg_hi:[0,1]
	s_delay_alu instid0(VALU_DEP_1) | instskip(NEXT) | instid1(VALU_DEP_2)
	v_readfirstlane_b32 s20, v3
	v_readfirstlane_b32 s23, v2
	s_add_f32 s20, s23, s20
	s_delay_alu instid0(SALU_CYCLE_3) | instskip(NEXT) | instid1(SALU_CYCLE_3)
	s_add_f32 s20, s21, s20
	s_mul_f32 s21, s22, s20
	s_delay_alu instid0(SALU_CYCLE_3) | instskip(NEXT) | instid1(SALU_CYCLE_3)
	s_add_f32 s20, s24, s21
	s_sub_f32 s22, s20, s24
	s_mul_f32 s23, s20, s20
	s_delay_alu instid0(SALU_CYCLE_2) | instskip(NEXT) | instid1(SALU_CYCLE_2)
	s_sub_f32 s24, s21, s22
	s_xor_b32 s21, s23, 0x80000000
	s_delay_alu instid0(SALU_CYCLE_1) | instskip(NEXT) | instid1(SALU_CYCLE_1)
	s_fmac_f32 s21, s20, s20
	s_add_f32 s22, s24, s24
	s_delay_alu instid0(SALU_CYCLE_3) | instskip(NEXT) | instid1(SALU_CYCLE_3)
	s_fmac_f32 s21, s20, s22
	s_add_f32 s22, s23, s21
	s_delay_alu instid0(SALU_CYCLE_3) | instskip(SKIP_1) | instid1(SALU_CYCLE_2)
	s_fmaak_f32 s25, s22, s25, 0x3e91f4c4
	s_sub_f32 s23, s22, s23
	s_fmaak_f32 s25, s22, s25, 0x3ecccdef
	s_delay_alu instid0(SALU_CYCLE_2) | instskip(NEXT) | instid1(SALU_CYCLE_2)
	s_sub_f32 s29, s21, s23
	s_mul_f32 s26, s22, s25
	s_delay_alu instid0(SALU_CYCLE_3) | instskip(NEXT) | instid1(SALU_CYCLE_1)
	s_xor_b32 s27, s26, 0x80000000
	s_fmac_f32 s27, s22, s25
	s_delay_alu instid0(SALU_CYCLE_3) | instskip(NEXT) | instid1(SALU_CYCLE_3)
	s_fmac_f32 s27, s29, s25
	s_add_f32 s23, s26, s27
	s_delay_alu instid0(SALU_CYCLE_3) | instskip(SKIP_1) | instid1(SALU_CYCLE_2)
	s_sub_f32 s21, s23, s26
	s_add_f32 s25, s23, 0x3f2aaaaa
	s_sub_f32 s21, s27, s21
	s_delay_alu instid0(SALU_CYCLE_2) | instskip(NEXT) | instid1(SALU_CYCLE_2)
	s_add_f32 s26, s25, 0xbf2aaaaa
	s_add_f32 s21, s21, 0x31739010
	s_delay_alu instid0(SALU_CYCLE_2) | instskip(NEXT) | instid1(SALU_CYCLE_2)
	s_sub_f32 s23, s23, s26
	v_mov_b64_e32 v[2:3], s[20:21]
	s_delay_alu instid0(SALU_CYCLE_2) | instskip(NEXT) | instid1(VALU_DEP_1)
	v_mov_b64_e32 v[4:5], s[22:23]
	v_pk_mul_f32 v[6:7], v[2:3], v[4:5]
	v_pk_add_f32 v[2:3], v[2:3], v[4:5]
	v_mov_b32_e32 v9, s25
	s_delay_alu instid0(VALU_DEP_3) | instskip(NEXT) | instid1(VALU_DEP_3)
	v_xor_b32_e32 v8, 0x80000000, v6
	v_mov_b32_e32 v7, v3
	s_delay_alu instid0(VALU_DEP_2) | instskip(NEXT) | instid1(VALU_DEP_1)
	v_fmac_f32_e64 v8, s22, s20
	v_fmac_f32_e64 v8, s22, s24
	s_delay_alu instid0(VALU_DEP_1) | instskip(NEXT) | instid1(VALU_DEP_1)
	v_fmac_f32_e64 v8, s29, s20
	v_pk_add_f32 v[4:5], v[6:7], v[8:9]
	s_delay_alu instid0(VALU_DEP_1) | instskip(SKIP_1) | instid1(VALU_DEP_2)
	v_dual_mov_b32 v2, v5 :: v_dual_sub_f32 v7, s25, v5
	v_mul_f32_e32 v12, 0x3f317218, v1
	v_pk_mul_f32 v[10:11], v[4:5], v[2:3]
	s_delay_alu instid0(VALU_DEP_3) | instskip(NEXT) | instid1(VALU_DEP_3)
	v_add_f32_e32 v3, v3, v7
	v_xor_b32_e32 v7, 0x80000000, v12
	s_delay_alu instid0(VALU_DEP_3) | instskip(NEXT) | instid1(VALU_DEP_2)
	v_xor_b32_e32 v2, 0x80000000, v10
	v_dual_sub_f32 v6, v4, v6 :: v_dual_fmac_f32 v7, 0x3f317218, v1
	s_delay_alu instid0(VALU_DEP_2) | instskip(NEXT) | instid1(VALU_DEP_2)
	v_fmac_f32_e32 v2, v4, v5
	v_sub_f32_e32 v6, v8, v6
	s_delay_alu instid0(VALU_DEP_2) | instskip(NEXT) | instid1(VALU_DEP_1)
	v_fmac_f32_e32 v2, v4, v3
	v_fmac_f32_e32 v2, v6, v5
	v_fmamk_f32 v4, v1, 0xb102e308, v7
	v_ldexp_f32 v5, s20, 1
	v_ldexp_f32 v1, s24, 1
	s_delay_alu instid0(VALU_DEP_2) | instskip(NEXT) | instid1(VALU_DEP_1)
	v_dual_add_f32 v13, v10, v2 :: v_dual_mov_b32 v11, v5
	v_pk_add_f32 v[6:7], v[12:13], v[4:5]
	v_dual_mov_b32 v8, v13 :: v_dual_mov_b32 v3, v13
	s_delay_alu instid0(VALU_DEP_2) | instskip(SKIP_1) | instid1(VALU_DEP_2)
	v_dual_mov_b32 v9, v7 :: v_dual_mov_b32 v5, v6
	v_mov_b32_e32 v14, v7
	v_pk_add_f32 v[8:9], v[8:9], v[10:11] neg_lo:[0,1] neg_hi:[0,1]
	s_delay_alu instid0(VALU_DEP_1) | instskip(NEXT) | instid1(VALU_DEP_1)
	v_pk_add_f32 v[2:3], v[2:3], v[8:9] neg_lo:[0,1] neg_hi:[0,1]
	v_add_f32_e32 v1, v1, v2
	s_delay_alu instid0(VALU_DEP_1) | instskip(NEXT) | instid1(VALU_DEP_1)
	v_add_f32_e32 v13, v1, v3
	v_pk_add_f32 v[2:3], v[6:7], v[12:13]
	v_pk_add_f32 v[8:9], v[6:7], v[12:13] neg_lo:[0,1] neg_hi:[0,1]
	s_delay_alu instid0(VALU_DEP_2) | instskip(NEXT) | instid1(VALU_DEP_1)
	v_mov_b32_e32 v9, v3
	v_pk_add_f32 v[10:11], v[4:5], v[8:9]
	v_pk_add_f32 v[4:5], v[4:5], v[8:9] neg_lo:[0,1] neg_hi:[0,1]
	v_dual_mov_b32 v16, v3 :: v_dual_mov_b32 v5, v6
	s_delay_alu instid0(VALU_DEP_3) | instskip(NEXT) | instid1(VALU_DEP_3)
	v_dual_mov_b32 v12, v11 :: v_dual_mov_b32 v17, v11
	v_readfirstlane_b32 s20, v4
	s_delay_alu instid0(VALU_DEP_2) | instskip(NEXT) | instid1(VALU_DEP_2)
	v_pk_add_f32 v[8:9], v[12:13], v[6:7] neg_lo:[0,1] neg_hi:[0,1]
	v_dual_mov_b32 v4, v13 :: v_dual_mov_b32 v10, s20
	s_delay_alu instid0(VALU_DEP_2) | instskip(NEXT) | instid1(VALU_DEP_1)
	v_dual_mov_b32 v15, v8 :: v_dual_mov_b32 v1, v8
	v_pk_add_f32 v[6:7], v[16:17], v[14:15] neg_lo:[0,1] neg_hi:[0,1]
	s_delay_alu instid0(VALU_DEP_2) | instskip(SKIP_1) | instid1(VALU_DEP_3)
	v_pk_add_f32 v[2:3], v[2:3], v[0:1] neg_lo:[0,1] neg_hi:[0,1]
	v_mov_b32_e32 v2, s20
	v_pk_add_f32 v[4:5], v[4:5], v[6:7] neg_lo:[0,1] neg_hi:[0,1]
	s_delay_alu instid0(VALU_DEP_1) | instskip(NEXT) | instid1(VALU_DEP_1)
	v_pk_add_f32 v[2:3], v[2:3], v[4:5]
	v_readfirstlane_b32 s21, v2
	s_delay_alu instid0(VALU_DEP_2) | instskip(NEXT) | instid1(VALU_DEP_1)
	v_mov_b32_e32 v6, v3
	v_pk_add_f32 v[6:7], v[2:3], v[6:7]
	s_delay_alu instid0(VALU_DEP_3) | instskip(NEXT) | instid1(VALU_DEP_2)
	v_mov_b32_e32 v2, s21
	v_pk_add_f32 v[8:9], v[12:13], v[6:7]
	v_mov_b32_e32 v5, v6
	s_delay_alu instid0(VALU_DEP_2) | instskip(NEXT) | instid1(VALU_DEP_1)
	v_readfirstlane_b32 s22, v8
	v_mov_b32_e32 v3, s22
	s_delay_alu instid0(VALU_DEP_1) | instskip(NEXT) | instid1(VALU_DEP_1)
	v_pk_add_f32 v[2:3], v[2:3], v[10:11] neg_lo:[0,1] neg_hi:[0,1]
	v_readfirstlane_b32 s23, v2
	s_delay_alu instid0(VALU_DEP_2) | instskip(SKIP_1) | instid1(VALU_DEP_1)
	v_pk_add_f32 v[2:3], v[4:5], v[2:3] neg_lo:[0,1] neg_hi:[0,1]
	s_sub_f32 s21, s21, s23
	v_readfirstlane_b32 s23, v2
	s_delay_alu instid0(SALU_CYCLE_2) | instskip(SKIP_1) | instid1(SALU_CYCLE_2)
	s_sub_f32 s20, s20, s21
	v_readfirstlane_b32 s21, v3
	s_add_f32 s20, s23, s20
	s_delay_alu instid0(SALU_CYCLE_3) | instskip(NEXT) | instid1(SALU_CYCLE_3)
	s_add_f32 s20, s20, s21
	s_add_f32 s21, s22, s20
	s_delay_alu instid0(SALU_CYCLE_3) | instskip(SKIP_1) | instid1(SALU_CYCLE_2)
	s_mul_f32 s23, s11, s21
	s_sub_f32 s22, s21, s22
	s_xor_b32 s24, s23, 0x80000000
	s_delay_alu instid0(SALU_CYCLE_2) | instskip(SKIP_1) | instid1(SALU_CYCLE_3)
	s_sub_f32 s20, s20, s22
	s_fmac_f32 s24, s11, s21
	s_fmac_f32 s24, s11, s20
	v_cmp_class_f32_e64 s20, s23, 0x204
	s_delay_alu instid0(SALU_CYCLE_2) | instskip(SKIP_1) | instid1(SALU_CYCLE_2)
	s_add_f32 s21, s23, s24
	s_and_b32 s20, s20, exec_lo
	s_sub_f32 s20, s21, s23
	s_cselect_b32 s21, s23, s21
	s_delay_alu instid0(SALU_CYCLE_1) | instskip(NEXT) | instid1(SALU_CYCLE_1)
	s_and_b32 s22, s21, 0x7fffffff
	s_sub_f32 s20, s24, s20
	s_cmp_neq_f32 s22, 0x7f800000
	s_delay_alu instid0(SALU_CYCLE_2) | instskip(SKIP_2) | instid1(SALU_CYCLE_1)
	s_cselect_b32 s20, s20, 0
	s_cmp_eq_f32 s21, 0x42b17218
	s_cselect_b32 s22, 0x37000000, 0
	s_sub_f32 s21, s21, s22
	s_add_f32 s20, s22, s20
	s_delay_alu instid0(SALU_CYCLE_2) | instskip(NEXT) | instid1(SALU_CYCLE_3)
	s_mul_f32 s23, s21, 0x3fb8aa3b
	s_xor_b32 s24, s23, 0x80000000
	s_rndne_f32 s25, s23
	s_fmamk_f32 s24, s21, 0x3fb8aa3b, s24
	s_cmp_nlt_f32 s21, 0xc2ce8ed0
	s_delay_alu instid0(SALU_CYCLE_1) | instskip(NEXT) | instid1(SALU_CYCLE_1)
	s_sub_f32 s23, s23, s25
	s_fmamk_f32 s24, s21, 0x32a5705f, s24
	s_cselect_b32 vcc_lo, -1, 0
	s_cmp_ngt_f32 s21, 0x42b17218
	s_trunc_f32 s21, s11
	s_add_f32 s23, s23, s24
	s_cvt_i32_f32 s24, s25
	s_delay_alu instid0(SALU_CYCLE_2)
	v_s_exp_f32 s23, s23
	v_nop
	s_delay_alu instid0(TRANS32_DEP_1) | instid1(SALU_CYCLE_1)
	v_ldexp_f32 v1, s23, s24
	s_mul_f32 s23, s11, 0.5
	s_delay_alu instid0(VALU_DEP_1) | instskip(SKIP_3) | instid1(VALU_DEP_1)
	v_cndmask_b32_e32 v1, 0, v1, vcc_lo
	s_cselect_b32 vcc_lo, -1, 0
	s_cmp_eq_f32 s21, s11
	s_trunc_f32 s24, s23
	v_cndmask_b32_e32 v1, 0x7f800000, v1, vcc_lo
	s_cselect_b32 s25, -1, 0
	s_delay_alu instid0(SALU_CYCLE_1) | instskip(NEXT) | instid1(VALU_DEP_1)
	s_cmp_neq_f32 s24, s23
	v_fma_f32 v2, s20, v1, v1
	v_cmp_class_f32_e64 vcc_lo, v1, 0x204
	s_cselect_b32 s22, -1, 0
	s_delay_alu instid0(SALU_CYCLE_1)
	s_and_b32 s20, s25, s22
	v_cndmask_b32_e32 v1, v2, v1, vcc_lo
	s_and_b32 s22, s20, exec_lo
	s_cselect_b32 s22, s3, 1.0
	s_cmp_eq_f32 s21, s11
	v_cmp_class_f32_e64 s21, s3, 0x204
	v_bfi_b32 v1, 0x7fffffff, v1, s22
	s_cselect_b32 vcc_lo, -1, 0
	s_cmp_lt_f32 s3, 0
	s_delay_alu instid0(VALU_DEP_1) | instskip(SKIP_2) | instid1(VALU_DEP_1)
	v_cndmask_b32_e32 v2, 0x7fc00000, v1, vcc_lo
	s_cselect_b32 vcc_lo, -1, 0
	s_cmp_eq_f32 s3, 0
	v_cndmask_b32_e32 v1, v1, v2, vcc_lo
	s_cselect_b32 s22, -1, 0
	s_delay_alu instid0(SALU_CYCLE_1) | instskip(SKIP_2) | instid1(SALU_CYCLE_1)
	s_or_b32 vcc_lo, s22, s21
	s_cmp_lt_f32 s11, 0
	s_cselect_b32 s11, -1, 0
	s_xor_b32 s11, s11, s22
	s_delay_alu instid0(SALU_CYCLE_1)
	s_and_b32 s11, s11, exec_lo
	s_cselect_b32 s11, 0, 0x7f800000
	s_and_b32 s20, s20, exec_lo
	s_cselect_b32 s20, s3, 0
	s_cmp_o_f32 s3, s3
	v_mov_b32_e32 v2, s20
	s_delay_alu instid0(VALU_DEP_1) | instskip(NEXT) | instid1(VALU_DEP_1)
	v_bfi_b32 v2, 0x7fffffff, s11, v2
	v_cndmask_b32_e32 v1, v1, v2, vcc_lo
	s_cselect_b32 vcc_lo, -1, 0
	s_delay_alu instid0(VALU_DEP_1)
	v_cndmask_b32_e32 v1, 0x7fc00000, v1, vcc_lo
.LBB12_8:
	s_load_b256 s[20:27], s[0:1], 0x0
	s_load_b32 s3, s[18:19], 0xc
	s_wait_kmcnt 0x0
	s_cmp_lg_u64 s[24:25], 0
	s_cselect_b32 s29, -1, 0
	s_cmp_eq_u64 s[24:25], 0
	s_cbranch_scc1 .LBB12_12
; %bb.9:
	s_load_b32 s0, s[24:25], s28 offset:0x0 scale_offset
	s_branch .LBB12_13
.LBB12_10:
                                        ; implicit-def: $sgpr12_sgpr13
	s_branch .LBB12_2
.LBB12_11:
                                        ; implicit-def: $sgpr14_sgpr15
	s_branch .LBB12_5
.LBB12_12:
	s_mov_b32 s0, 0xff800000
.LBB12_13:
	s_bfe_u32 s1, ttmp6, 0x4000c
	s_and_b32 s11, ttmp6, 15
	s_add_co_i32 s1, s1, 1
	s_wait_kmcnt 0x0
	v_mov_b32_e32 v6, s0
	s_mul_i32 s1, ttmp9, s1
	s_delay_alu instid0(SALU_CYCLE_1)
	s_add_co_i32 s11, s11, s1
	s_cmp_eq_u32 s30, 0
	s_mul_i32 s1, s17, s10
	s_cselect_b32 s10, ttmp9, s11
	s_add_co_i32 s1, s1, s28
	s_bfe_i64 s[36:37], s[34:35], 0x200000
	s_mul_i32 s1, s1, s16
	s_and_b32 s17, 0xffff, s3
	s_add_co_i32 s38, s1, s10
	s_mov_b32 s11, 0
	s_ashr_i32 s39, s38, 31
	s_cmp_gt_i32 s34, 0
	s_cselect_b32 s35, -1, 0
	s_cmp_lt_i32 s34, 1
	s_cbranch_scc1 .LBB12_21
; %bb.14:
	s_mul_u64 s[4:5], s[4:5], s[10:11]
	s_mul_u64 s[6:7], s[12:13], s[6:7]
	;; [unrolled: 1-line block ×3, first 2 shown]
	s_add_nc_u64 s[4:5], s[6:7], s[4:5]
	s_mul_u64 s[6:7], s[38:39], s[36:37]
	s_add_nc_u64 s[4:5], s[4:5], s[8:9]
	v_dual_mov_b32 v5, 0 :: v_dual_lshlrev_b32 v4, 2, v0
	s_lshr_b64 s[4:5], s[4:5], 1
	s_cmp_lg_u64 s[22:23], 0
	s_mov_b32 s3, s11
	s_cselect_b32 s1, -1, 0
	v_add3_u32 v8, v4, 0, 0x80
	v_cndmask_b32_e64 v7, 0, 1, s1
	s_and_b32 s1, s1, exec_lo
	s_cselect_b32 s5, s5, 0
	s_cselect_b32 s4, s4, 0
	s_lshl_b64 s[6:7], s[6:7], 2
	s_lshl_b64 s[4:5], s[4:5], 1
	s_add_nc_u64 s[6:7], s[20:21], s[6:7]
	s_add_nc_u64 s[4:5], s[22:23], s[4:5]
	v_add_nc_u64_e32 v[2:3], s[6:7], v[4:5]
	v_dual_lshlrev_b32 v4, 1, v0 :: v_dual_mov_b32 v6, s0
	s_lshl_b32 s10, s17, 2
	s_mov_b32 s1, s11
	s_delay_alu instid0(VALU_DEP_1)
	v_add_nc_u64_e32 v[4:5], s[4:5], v[4:5]
	s_lshl_b32 s4, s17, 1
	s_mov_b32 s5, s11
	s_branch .LBB12_17
.LBB12_15:                              ;   in Loop: Header=BB12_17 Depth=1
	s_wait_loadcnt 0x0
	s_delay_alu instid0(VALU_DEP_1)
	v_dual_fmac_f32 v10, s2, v9 :: v_dual_max_num_f32 v6, v6, v6
	ds_store_b32 v8, v10
	v_max_num_f32_e32 v6, v6, v10
.LBB12_16:                              ;   in Loop: Header=BB12_17 Depth=1
	s_wait_xcnt 0x0
	s_or_b32 exec_lo, exec_lo, s6
	s_add_co_i32 s3, s3, s17
	v_add_nc_u64_e32 v[2:3], s[10:11], v[2:3]
	s_cmp_ge_i32 s3, s34
	v_add_nc_u64_e32 v[4:5], s[4:5], v[4:5]
	s_cselect_b32 s6, -1, 0
	s_xor_b32 s0, s0, -1
	v_add_nc_u32_e32 v8, s10, v8
	s_or_b32 s0, s0, s6
	s_delay_alu instid0(SALU_CYCLE_1) | instskip(NEXT) | instid1(SALU_CYCLE_1)
	s_and_b32 s0, exec_lo, s0
	s_or_b32 s1, s0, s1
	s_delay_alu instid0(SALU_CYCLE_1)
	s_and_not1_b32 exec_lo, exec_lo, s1
	s_cbranch_execz .LBB12_20
.LBB12_17:                              ; =>This Inner Loop Header: Depth=1
	v_add_nc_u32_e32 v9, s3, v0
	s_delay_alu instid0(VALU_DEP_1)
	v_cmp_gt_i32_e64 s0, s34, v9
	s_and_saveexec_b32 s6, s0
	s_cbranch_execz .LBB12_16
; %bb.18:                               ;   in Loop: Header=BB12_17 Depth=1
	global_load_b32 v9, v[2:3], off
	v_cmp_ne_u32_e32 vcc_lo, 1, v7
	v_mov_b32_e32 v10, 0
	s_cbranch_vccnz .LBB12_15
; %bb.19:                               ;   in Loop: Header=BB12_17 Depth=1
	global_load_u16 v10, v[4:5], off
	s_wait_loadcnt 0x0
	v_cvt_f32_f16_e32 v10, v10
	s_delay_alu instid0(VALU_DEP_1)
	v_mul_f32_e32 v10, v1, v10
	s_branch .LBB12_15
.LBB12_20:
	s_or_b32 exec_lo, exec_lo, s1
.LBB12_21:
	v_mbcnt_lo_u32_b32 v1, -1, 0
	s_cmp_gt_u32 s17, 32
	s_mov_b32 s20, 0
	s_cselect_b32 s21, -1, 0
	s_cmp_lt_u32 s17, 33
	v_dual_max_num_f32 v4, v6, v6 :: v_dual_bitop2_b32 v2, 16, v1 bitop3:0x14
	s_mov_b32 s22, -1
	v_xor_b32_e32 v3, 8, v1
	s_delay_alu instid0(VALU_DEP_2) | instskip(SKIP_1) | instid1(VALU_DEP_3)
	v_cmp_gt_i32_e32 vcc_lo, 32, v2
	v_cndmask_b32_e32 v2, v1, v2, vcc_lo
	v_cmp_gt_i32_e32 vcc_lo, 32, v3
	s_delay_alu instid0(VALU_DEP_2) | instskip(SKIP_3) | instid1(VALU_DEP_1)
	v_dual_lshlrev_b32 v41, 2, v2 :: v_dual_cndmask_b32 v3, v1, v3, vcc_lo
	ds_bpermute_b32 v2, v41, v6
	s_wait_dscnt 0x0
	v_dual_lshlrev_b32 v42, 2, v3 :: v_dual_max_num_f32 v2, v2, v2
	v_dual_max_num_f32 v2, v4, v2 :: v_dual_bitop2_b32 v4, 4, v1 bitop3:0x14
	ds_bpermute_b32 v3, v42, v2
	v_cmp_gt_i32_e32 vcc_lo, 32, v4
	s_wait_dscnt 0x0
	v_dual_cndmask_b32 v4, v1, v4 :: v_dual_max_num_f32 v3, v3, v3
	s_delay_alu instid0(VALU_DEP_1) | instskip(SKIP_3) | instid1(VALU_DEP_1)
	v_dual_max_num_f32 v2, v2, v3 :: v_dual_lshlrev_b32 v43, 2, v4
	ds_bpermute_b32 v3, v43, v2
	s_wait_dscnt 0x0
	v_dual_max_num_f32 v3, v3, v3 :: v_dual_bitop2_b32 v4, 2, v1 bitop3:0x14
	v_cmp_gt_i32_e32 vcc_lo, 32, v4
	s_delay_alu instid0(VALU_DEP_2) | instskip(NEXT) | instid1(VALU_DEP_1)
	v_dual_max_num_f32 v2, v2, v3 :: v_dual_cndmask_b32 v4, v1, v4, vcc_lo
	v_dual_lshlrev_b32 v44, 2, v4 :: v_dual_bitop2_b32 v4, 1, v1 bitop3:0x14
	ds_bpermute_b32 v3, v44, v2
	v_cmp_gt_i32_e32 vcc_lo, 32, v4
	v_cndmask_b32_e32 v1, v1, v4, vcc_lo
	s_wait_dscnt 0x0
	s_delay_alu instid0(VALU_DEP_1) | instskip(NEXT) | instid1(VALU_DEP_1)
	v_dual_lshlrev_b32 v45, 2, v1 :: v_dual_max_num_f32 v3, v3, v3
	v_max_num_f32_e32 v2, v2, v3
	ds_bpermute_b32 v1, v45, v2
	s_wait_dscnt 0x0
	v_max_num_f32_e32 v1, v1, v1
	s_delay_alu instid0(VALU_DEP_1)
	v_max_num_f32_e32 v46, v2, v1
	s_cbranch_scc1 .LBB12_30
; %bb.22:
	s_cmp_gt_u32 s17, 0x400
	s_mov_b32 s22, 0
	s_cselect_b32 s0, -1, 0
	s_and_b32 s1, s17, 31
	s_delay_alu instid0(SALU_CYCLE_1) | instskip(SKIP_1) | instid1(SALU_CYCLE_1)
	s_cmp_lg_u32 s1, 0
	s_cselect_b32 s1, -1, 0
	s_or_b32 s1, s0, s1
	s_mov_b32 s0, -1
	s_and_b32 vcc_lo, exec_lo, s1
	s_mov_b32 s1, 0
	s_cbranch_vccnz .LBB12_33
; %bb.23:
	s_and_not1_b32 vcc_lo, exec_lo, s0
	s_cbranch_vccz .LBB12_34
.LBB12_24:
	s_and_b32 vcc_lo, exec_lo, s22
	s_cbranch_vccz .LBB12_31
.LBB12_25:
	s_and_not1_b32 vcc_lo, exec_lo, s35
	s_cbranch_vccnz .LBB12_39
; %bb.26:
	v_lshlrev_b32_e32 v1, 2, v0
	s_mov_b32 s2, 0
	s_lshl_b32 s3, s17, 2
	s_mov_b32 s4, 0
	s_delay_alu instid0(VALU_DEP_1)
	v_add3_u32 v2, v1, 0, 0x80
	v_mov_b32_e32 v1, 0
	s_branch .LBB12_28
.LBB12_27:                              ;   in Loop: Header=BB12_28 Depth=1
	s_or_b32 exec_lo, exec_lo, s5
	s_add_co_i32 s4, s4, s17
	v_add_nc_u32_e32 v2, s3, v2
	s_cmp_ge_i32 s4, s34
	s_cselect_b32 s0, -1, 0
	s_xor_b32 s5, vcc_lo, -1
	s_delay_alu instid0(SALU_CYCLE_1) | instskip(NEXT) | instid1(SALU_CYCLE_1)
	s_or_b32 s0, s5, s0
	s_and_b32 s0, exec_lo, s0
	s_delay_alu instid0(SALU_CYCLE_1) | instskip(NEXT) | instid1(SALU_CYCLE_1)
	s_or_b32 s2, s0, s2
	s_and_not1_b32 exec_lo, exec_lo, s2
	s_cbranch_execz .LBB12_32
.LBB12_28:                              ; =>This Inner Loop Header: Depth=1
	v_add_nc_u32_e32 v3, s4, v0
	s_delay_alu instid0(VALU_DEP_1)
	v_cmp_gt_i32_e32 vcc_lo, s34, v3
	s_and_saveexec_b32 s5, vcc_lo
	s_cbranch_execz .LBB12_27
; %bb.29:                               ;   in Loop: Header=BB12_28 Depth=1
	ds_load_b32 v3, v2
	s_wait_dscnt 0x0
	v_sub_f32_e32 v3, v3, v46
	s_delay_alu instid0(VALU_DEP_1) | instskip(NEXT) | instid1(VALU_DEP_1)
	v_mul_f32_e32 v4, 0x3fb8aa3b, v3
	v_fma_f32 v5, 0x3fb8aa3b, v3, -v4
	v_rndne_f32_e32 v6, v4
	s_delay_alu instid0(VALU_DEP_1) | instskip(NEXT) | instid1(VALU_DEP_1)
	v_dual_fmac_f32 v5, 0x32a5705f, v3 :: v_dual_sub_f32 v4, v4, v6
	v_add_f32_e32 v4, v4, v5
	v_cvt_i32_f32_e32 v5, v6
	v_cmp_ngt_f32_e64 s0, 0xc2ce8ed0, v3
	s_delay_alu instid0(VALU_DEP_3) | instskip(SKIP_1) | instid1(TRANS32_DEP_1)
	v_exp_f32_e32 v4, v4
	v_nop
	v_ldexp_f32 v4, v4, v5
	s_delay_alu instid0(VALU_DEP_1) | instskip(SKIP_1) | instid1(VALU_DEP_1)
	v_cndmask_b32_e64 v4, 0, v4, s0
	v_cmp_nlt_f32_e64 s0, 0x42b17218, v3
	v_cndmask_b32_e64 v3, 0x7f800000, v4, s0
	s_delay_alu instid0(VALU_DEP_1)
	v_add_f32_e32 v1, v1, v3
	ds_store_b32 v2, v3
	s_branch .LBB12_27
.LBB12_30:
	s_mov_b32 s1, 0
	s_and_b32 vcc_lo, exec_lo, s22
	s_cbranch_vccnz .LBB12_25
.LBB12_31:
	s_mov_b32 s0, 0
                                        ; implicit-def: $vgpr1
	s_and_b32 vcc_lo, exec_lo, s1
	s_cbranch_vccnz .LBB12_45
	s_branch .LBB12_46
.LBB12_32:
	s_or_b32 exec_lo, exec_lo, s2
	s_branch .LBB12_40
.LBB12_33:
	s_get_pc_i64 s[0:1]
	s_add_nc_u64 s[0:1], s[0:1], .str.2@rel64+4
	s_get_pc_i64 s[2:3]
	s_add_nc_u64 s[2:3], s[2:3], .str.3@rel64+4
	s_get_pc_i64 s[4:5]
	s_add_nc_u64 s[4:5], s[4:5], __PRETTY_FUNCTION__._ZL12block_reduceIL19block_reduce_method0ELj0EfET1_S1_PS1_@rel64+4
	v_dual_mov_b32 v47, v0 :: v_dual_mov_b32 v0, s0
	v_dual_mov_b32 v1, s1 :: v_dual_mov_b32 v2, s2
	;; [unrolled: 1-line block ×4, first 2 shown]
	s_get_pc_i64 s[6:7]
	s_add_nc_u64 s[6:7], s[6:7], __assert_fail@rel64+4
	s_mov_b64 s[8:9], s[18:19]
	s_swap_pc_i64 s[30:31], s[6:7]
	v_mov_b32_e32 v0, v47
	s_mov_b32 s1, -1
	s_cbranch_execnz .LBB12_24
.LBB12_34:
	s_delay_alu instid0(VALU_DEP_1) | instskip(SKIP_1) | instid1(VALU_DEP_1)
	v_and_b32_e32 v1, 31, v0
	s_mov_b32 s0, exec_lo
	v_cmpx_eq_u32_e32 0, v1
; %bb.35:
	v_lshrrev_b32_e32 v2, 3, v0
	s_delay_alu instid0(VALU_DEP_1)
	v_add_nc_u32_e32 v2, 0, v2
	ds_store_b32 v2, v46
; %bb.36:
	s_or_b32 exec_lo, exec_lo, s0
	s_lshr_b32 s0, s17, 5
	v_mov_b32_e32 v2, 0xff800000
	v_cmp_gt_u32_e32 vcc_lo, s0, v1
	s_wait_storecnt_dscnt 0x0
	s_barrier_signal -1
	s_barrier_wait -1
	s_and_saveexec_b32 s0, vcc_lo
; %bb.37:
	v_lshl_add_u32 v1, v1, 2, 0
	ds_load_b32 v2, v1
; %bb.38:
	s_or_b32 exec_lo, exec_lo, s0
	s_wait_dscnt 0x0
	ds_bpermute_b32 v1, v41, v2
	s_wait_dscnt 0x0
	v_dual_max_num_f32 v2, v2, v2 :: v_dual_max_num_f32 v1, v1, v1
	s_delay_alu instid0(VALU_DEP_1) | instskip(SKIP_3) | instid1(VALU_DEP_1)
	v_max_num_f32_e32 v1, v2, v1
	ds_bpermute_b32 v2, v42, v1
	s_wait_dscnt 0x0
	v_max_num_f32_e32 v2, v2, v2
	v_max_num_f32_e32 v1, v1, v2
	ds_bpermute_b32 v2, v43, v1
	s_wait_dscnt 0x0
	v_max_num_f32_e32 v2, v2, v2
	s_delay_alu instid0(VALU_DEP_1) | instskip(SKIP_3) | instid1(VALU_DEP_1)
	v_max_num_f32_e32 v1, v1, v2
	ds_bpermute_b32 v2, v44, v1
	s_wait_dscnt 0x0
	v_max_num_f32_e32 v2, v2, v2
	v_max_num_f32_e32 v1, v1, v2
	ds_bpermute_b32 v2, v45, v1
	s_wait_dscnt 0x0
	v_max_num_f32_e32 v2, v2, v2
	s_delay_alu instid0(VALU_DEP_1)
	v_max_num_f32_e32 v46, v1, v2
	s_cbranch_execnz .LBB12_25
	s_branch .LBB12_31
.LBB12_39:
	v_mov_b32_e32 v1, 0
.LBB12_40:
	ds_bpermute_b32 v2, v41, v1
	s_and_not1_b32 vcc_lo, exec_lo, s21
	s_wait_dscnt 0x0
	v_add_f32_e32 v1, v1, v2
	ds_bpermute_b32 v2, v42, v1
	s_wait_dscnt 0x0
	v_add_f32_e32 v1, v1, v2
	ds_bpermute_b32 v2, v43, v1
	;; [unrolled: 3-line block ×4, first 2 shown]
	s_cbranch_vccnz .LBB12_43
; %bb.41:
	s_cmp_gt_u32 s17, 0x400
	s_mov_b32 s20, 0
	s_cselect_b32 s0, -1, 0
	s_and_b32 s2, s17, 31
	s_delay_alu instid0(SALU_CYCLE_1) | instskip(SKIP_1) | instid1(SALU_CYCLE_1)
	s_cmp_lg_u32 s2, 0
	s_cselect_b32 s2, -1, 0
	s_or_b32 s0, s0, s2
	s_delay_alu instid0(SALU_CYCLE_1)
	s_and_b32 vcc_lo, exec_lo, s0
	s_mov_b32 s0, -1
	s_cbranch_vccz .LBB12_44
; %bb.42:
	s_get_pc_i64 s[0:1]
	s_add_nc_u64 s[0:1], s[0:1], .str.2@rel64+4
	s_get_pc_i64 s[2:3]
	s_add_nc_u64 s[2:3], s[2:3], .str.3@rel64+4
	s_get_pc_i64 s[4:5]
	s_add_nc_u64 s[4:5], s[4:5], __PRETTY_FUNCTION__._ZL12block_reduceIL19block_reduce_method1ELj0EfET1_S1_PS1_@rel64+4
	v_dual_mov_b32 v56, v0 :: v_dual_mov_b32 v0, s0
	v_dual_mov_b32 v1, s1 :: v_dual_mov_b32 v2, s2
	;; [unrolled: 1-line block ×4, first 2 shown]
	s_get_pc_i64 s[6:7]
	s_add_nc_u64 s[6:7], s[6:7], __assert_fail@rel64+4
	s_mov_b64 s[8:9], s[18:19]
	s_swap_pc_i64 s[30:31], s[6:7]
	v_mov_b32_e32 v0, v56
	s_mov_b32 s1, -1
	s_mov_b32 s0, 0
	s_branch .LBB12_44
.LBB12_43:
	s_mov_b32 s0, 0
	s_mov_b32 s20, -1
.LBB12_44:
	s_wait_dscnt 0x0
	v_add_f32_e32 v1, v47, v55
	s_and_b32 vcc_lo, exec_lo, s1
	s_cbranch_vccz .LBB12_46
.LBB12_45:
	; divergent unreachable
.LBB12_46:
	s_and_not1_b32 vcc_lo, exec_lo, s0
	s_cbranch_vccz .LBB12_48
; %bb.47:
	s_and_b32 vcc_lo, exec_lo, s20
	s_cbranch_vccnz .LBB12_53
	s_branch .LBB12_60
.LBB12_48:
	v_and_b32_e32 v2, 31, v0
	s_mov_b32 s0, exec_lo
	s_delay_alu instid0(VALU_DEP_1)
	v_cmpx_eq_u32_e32 0, v2
; %bb.49:
	v_lshrrev_b32_e32 v3, 3, v0
	s_delay_alu instid0(VALU_DEP_1)
	v_add_nc_u32_e32 v3, 0, v3
	ds_store_b32 v3, v1
; %bb.50:
	s_or_b32 exec_lo, exec_lo, s0
	s_lshr_b32 s0, s17, 5
	v_mov_b32_e32 v1, 0
	v_cmp_gt_u32_e32 vcc_lo, s0, v2
	s_wait_storecnt_dscnt 0x0
	s_barrier_signal -1
	s_barrier_wait -1
	s_and_saveexec_b32 s0, vcc_lo
; %bb.51:
	v_lshl_add_u32 v1, v2, 2, 0
	ds_load_b32 v1, v1
; %bb.52:
	s_or_b32 exec_lo, exec_lo, s0
	s_wait_dscnt 0x0
	ds_bpermute_b32 v2, v41, v1
	s_wait_dscnt 0x0
	v_add_f32_e32 v1, v1, v2
	ds_bpermute_b32 v2, v42, v1
	s_wait_dscnt 0x0
	v_add_f32_e32 v1, v1, v2
	;; [unrolled: 3-line block ×5, first 2 shown]
	s_cbranch_execz .LBB12_60
.LBB12_53:
	s_and_not1_b32 vcc_lo, exec_lo, s29
	s_cbranch_vccnz .LBB12_55
; %bb.54:
	v_mov_b32_e32 v2, s28
	global_load_b32 v2, v2, s[24:25] scale_offset
	s_wait_loadcnt 0x0
	v_sub_f32_e32 v2, v2, v46
	s_delay_alu instid0(VALU_DEP_1) | instskip(NEXT) | instid1(VALU_DEP_1)
	v_mul_f32_e32 v3, 0x3fb8aa3b, v2
	v_fma_f32 v4, 0x3fb8aa3b, v2, -v3
	v_rndne_f32_e32 v5, v3
	s_delay_alu instid0(VALU_DEP_1) | instskip(NEXT) | instid1(VALU_DEP_1)
	v_dual_fmamk_f32 v4, v2, 0x32a5705f, v4 :: v_dual_sub_f32 v3, v3, v5
	v_add_f32_e32 v3, v3, v4
	v_cvt_i32_f32_e32 v4, v5
	v_cmp_ngt_f32_e32 vcc_lo, 0xc2ce8ed0, v2
	s_delay_alu instid0(VALU_DEP_3) | instskip(SKIP_1) | instid1(TRANS32_DEP_1)
	v_exp_f32_e32 v3, v3
	v_nop
	v_ldexp_f32 v3, v3, v4
	s_delay_alu instid0(VALU_DEP_1) | instskip(SKIP_1) | instid1(VALU_DEP_2)
	v_cndmask_b32_e32 v3, 0, v3, vcc_lo
	v_cmp_nlt_f32_e32 vcc_lo, 0x42b17218, v2
	v_cndmask_b32_e32 v2, 0x7f800000, v3, vcc_lo
	s_delay_alu instid0(VALU_DEP_1)
	v_add_f32_e32 v1, v1, v2
.LBB12_55:
	s_and_not1_b32 vcc_lo, exec_lo, s35
	s_cbranch_vccnz .LBB12_60
; %bb.56:
	s_delay_alu instid0(VALU_DEP_1) | instskip(SKIP_4) | instid1(SALU_CYCLE_1)
	v_div_scale_f32 v2, null, v1, v1, 1.0
	v_div_scale_f32 v5, vcc_lo, 1.0, v1, 1.0
	s_mul_u64 s[0:1], s[38:39], s[36:37]
	v_rcp_f32_e32 v3, v2
	s_lshl_b64 s[0:1], s[0:1], 2
                                        ; implicit-def: $sgpr4
	s_add_nc_u64 s[2:3], s[26:27], s[0:1]
	s_mov_b32 s1, 0
	s_lshl_b32 s0, s17, 2
	v_nop
	s_delay_alu instid0(TRANS32_DEP_1) | instskip(NEXT) | instid1(VALU_DEP_1)
	v_fma_f32 v4, -v2, v3, 1.0
	v_fmac_f32_e32 v3, v4, v3
	s_delay_alu instid0(VALU_DEP_1) | instskip(NEXT) | instid1(VALU_DEP_1)
	v_mul_f32_e32 v6, v5, v3
	v_fma_f32 v4, -v2, v6, v5
	s_delay_alu instid0(VALU_DEP_1) | instskip(NEXT) | instid1(VALU_DEP_1)
	v_dual_fmac_f32 v6, v4, v3 :: v_dual_lshlrev_b32 v4, 2, v0
	v_dual_fma_f32 v2, -v2, v6, v5 :: v_dual_mov_b32 v5, 0
	s_delay_alu instid0(VALU_DEP_1) | instskip(NEXT) | instid1(VALU_DEP_2)
	v_div_fmas_f32 v6, v2, v3, v6
	v_add_nc_u64_e32 v[2:3], s[2:3], v[4:5]
	v_add3_u32 v4, v4, 0, 0x80
	s_mov_b32 s2, s1
	s_mov_b32 s3, s1
	v_div_fixup_f32 v1, v6, v1, 1.0
	s_branch .LBB12_58
.LBB12_57:                              ;   in Loop: Header=BB12_58 Depth=1
	s_or_b32 exec_lo, exec_lo, s5
	s_delay_alu instid0(SALU_CYCLE_1) | instskip(NEXT) | instid1(SALU_CYCLE_1)
	s_and_b32 s5, exec_lo, s4
	s_or_b32 s2, s5, s2
	s_delay_alu instid0(SALU_CYCLE_1)
	s_and_not1_b32 exec_lo, exec_lo, s2
	s_cbranch_execz .LBB12_60
.LBB12_58:                              ; =>This Inner Loop Header: Depth=1
	v_add_nc_u32_e32 v5, s3, v0
	s_or_b32 s4, s4, exec_lo
	s_mov_b32 s5, exec_lo
	s_delay_alu instid0(VALU_DEP_1)
	v_cmpx_gt_i32_e64 s34, v5
	s_cbranch_execz .LBB12_57
; %bb.59:                               ;   in Loop: Header=BB12_58 Depth=1
	ds_load_b32 v5, v4
	s_add_co_i32 s3, s3, s17
	v_add_nc_u32_e32 v4, s0, v4
	s_cmp_ge_i32 s3, s34
	s_cselect_b32 s6, -1, 0
	s_and_not1_b32 s4, s4, exec_lo
	s_and_b32 s6, s6, exec_lo
	s_delay_alu instid0(SALU_CYCLE_1)
	s_or_b32 s4, s4, s6
	s_wait_dscnt 0x0
	v_mul_f32_e32 v5, v1, v5
	global_store_b32 v[2:3], v5, off
	s_wait_xcnt 0x0
	v_add_nc_u64_e32 v[2:3], s[0:1], v[2:3]
	s_branch .LBB12_57
.LBB12_60:
	s_endpgm
	.section	.rodata,"a",@progbits
	.p2align	6, 0x0
	.amdhsa_kernel _ZL12soft_max_f32ILb1ELi0ELi0E6__halfEvPKfPKT2_S2_Pf15soft_max_params
		.amdhsa_group_segment_fixed_size 0
		.amdhsa_private_segment_fixed_size 64
		.amdhsa_kernarg_size 416
		.amdhsa_user_sgpr_count 2
		.amdhsa_user_sgpr_dispatch_ptr 0
		.amdhsa_user_sgpr_queue_ptr 0
		.amdhsa_user_sgpr_kernarg_segment_ptr 1
		.amdhsa_user_sgpr_dispatch_id 0
		.amdhsa_user_sgpr_kernarg_preload_length 0
		.amdhsa_user_sgpr_kernarg_preload_offset 0
		.amdhsa_user_sgpr_private_segment_size 0
		.amdhsa_wavefront_size32 1
		.amdhsa_uses_dynamic_stack 0
		.amdhsa_enable_private_segment 1
		.amdhsa_system_sgpr_workgroup_id_x 1
		.amdhsa_system_sgpr_workgroup_id_y 1
		.amdhsa_system_sgpr_workgroup_id_z 1
		.amdhsa_system_sgpr_workgroup_info 0
		.amdhsa_system_vgpr_workitem_id 0
		.amdhsa_next_free_vgpr 57
		.amdhsa_next_free_sgpr 40
		.amdhsa_named_barrier_count 0
		.amdhsa_reserve_vcc 1
		.amdhsa_float_round_mode_32 0
		.amdhsa_float_round_mode_16_64 0
		.amdhsa_float_denorm_mode_32 3
		.amdhsa_float_denorm_mode_16_64 3
		.amdhsa_fp16_overflow 0
		.amdhsa_memory_ordered 1
		.amdhsa_forward_progress 1
		.amdhsa_inst_pref_size 43
		.amdhsa_round_robin_scheduling 0
		.amdhsa_exception_fp_ieee_invalid_op 0
		.amdhsa_exception_fp_denorm_src 0
		.amdhsa_exception_fp_ieee_div_zero 0
		.amdhsa_exception_fp_ieee_overflow 0
		.amdhsa_exception_fp_ieee_underflow 0
		.amdhsa_exception_fp_ieee_inexact 0
		.amdhsa_exception_int_div_zero 0
	.end_amdhsa_kernel
	.section	.text._ZL12soft_max_f32ILb1ELi0ELi0E6__halfEvPKfPKT2_S2_Pf15soft_max_params,"axG",@progbits,_ZL12soft_max_f32ILb1ELi0ELi0E6__halfEvPKfPKT2_S2_Pf15soft_max_params,comdat
.Lfunc_end12:
	.size	_ZL12soft_max_f32ILb1ELi0ELi0E6__halfEvPKfPKT2_S2_Pf15soft_max_params, .Lfunc_end12-_ZL12soft_max_f32ILb1ELi0ELi0E6__halfEvPKfPKT2_S2_Pf15soft_max_params
                                        ; -- End function
	.set _ZL12soft_max_f32ILb1ELi0ELi0E6__halfEvPKfPKT2_S2_Pf15soft_max_params.num_vgpr, max(57, .L__assert_fail.num_vgpr)
	.set _ZL12soft_max_f32ILb1ELi0ELi0E6__halfEvPKfPKT2_S2_Pf15soft_max_params.num_agpr, max(0, .L__assert_fail.num_agpr)
	.set _ZL12soft_max_f32ILb1ELi0ELi0E6__halfEvPKfPKT2_S2_Pf15soft_max_params.numbered_sgpr, max(40, .L__assert_fail.numbered_sgpr)
	.set _ZL12soft_max_f32ILb1ELi0ELi0E6__halfEvPKfPKT2_S2_Pf15soft_max_params.num_named_barrier, max(0, .L__assert_fail.num_named_barrier)
	.set _ZL12soft_max_f32ILb1ELi0ELi0E6__halfEvPKfPKT2_S2_Pf15soft_max_params.private_seg_size, 0+max(.L__assert_fail.private_seg_size)
	.set _ZL12soft_max_f32ILb1ELi0ELi0E6__halfEvPKfPKT2_S2_Pf15soft_max_params.uses_vcc, or(1, .L__assert_fail.uses_vcc)
	.set _ZL12soft_max_f32ILb1ELi0ELi0E6__halfEvPKfPKT2_S2_Pf15soft_max_params.uses_flat_scratch, or(0, .L__assert_fail.uses_flat_scratch)
	.set _ZL12soft_max_f32ILb1ELi0ELi0E6__halfEvPKfPKT2_S2_Pf15soft_max_params.has_dyn_sized_stack, or(0, .L__assert_fail.has_dyn_sized_stack)
	.set _ZL12soft_max_f32ILb1ELi0ELi0E6__halfEvPKfPKT2_S2_Pf15soft_max_params.has_recursion, or(0, .L__assert_fail.has_recursion)
	.set _ZL12soft_max_f32ILb1ELi0ELi0E6__halfEvPKfPKT2_S2_Pf15soft_max_params.has_indirect_call, or(0, .L__assert_fail.has_indirect_call)
	.section	.AMDGPU.csdata,"",@progbits
; Kernel info:
; codeLenInByte = 5412
; TotalNumSgprs: 42
; NumVgprs: 57
; ScratchSize: 64
; MemoryBound: 0
; FloatMode: 240
; IeeeMode: 1
; LDSByteSize: 0 bytes/workgroup (compile time only)
; SGPRBlocks: 0
; VGPRBlocks: 3
; NumSGPRsForWavesPerEU: 42
; NumVGPRsForWavesPerEU: 57
; NamedBarCnt: 0
; Occupancy: 16
; WaveLimiterHint : 1
; COMPUTE_PGM_RSRC2:SCRATCH_EN: 1
; COMPUTE_PGM_RSRC2:USER_SGPR: 2
; COMPUTE_PGM_RSRC2:TRAP_HANDLER: 0
; COMPUTE_PGM_RSRC2:TGID_X_EN: 1
; COMPUTE_PGM_RSRC2:TGID_Y_EN: 1
; COMPUTE_PGM_RSRC2:TGID_Z_EN: 1
; COMPUTE_PGM_RSRC2:TIDIG_COMP_CNT: 0
	.section	.text._ZL12soft_max_f32ILb0ELi0ELi0E6__halfEvPKfPKT2_S2_Pf15soft_max_params,"axG",@progbits,_ZL12soft_max_f32ILb0ELi0ELi0E6__halfEvPKfPKT2_S2_Pf15soft_max_params,comdat
	.globl	_ZL12soft_max_f32ILb0ELi0ELi0E6__halfEvPKfPKT2_S2_Pf15soft_max_params ; -- Begin function _ZL12soft_max_f32ILb0ELi0ELi0E6__halfEvPKfPKT2_S2_Pf15soft_max_params
	.p2align	8
	.type	_ZL12soft_max_f32ILb0ELi0ELi0E6__halfEvPKfPKT2_S2_Pf15soft_max_params,@function
_ZL12soft_max_f32ILb0ELi0ELi0E6__halfEvPKfPKT2_S2_Pf15soft_max_params: ; @_ZL12soft_max_f32ILb0ELi0ELi0E6__halfEvPKfPKT2_S2_Pf15soft_max_params
; %bb.0:
	s_clause 0x1
	s_load_b256 s[4:11], s[0:1], 0x68
	s_load_b64 s[16:17], s[0:1], 0x88
	s_bfe_u32 s2, ttmp6, 0x40010
	s_and_b32 s3, ttmp7, 0xffff
	s_add_co_i32 s2, s2, 1
	s_bfe_u32 s12, ttmp6, 0x40004
	s_mul_i32 s2, s3, s2
	s_getreg_b32 s30, hwreg(HW_REG_IB_STS2, 6, 4)
	s_add_co_i32 s12, s12, s2
	s_cmp_eq_u32 s30, 0
	s_mov_b32 s29, 0
	s_cselect_b32 s28, s3, s12
	s_mov_b32 s32, 0
	s_wait_kmcnt 0x0
	s_and_b64 s[2:3], s[10:11], 0xffffffff00000000
	s_delay_alu instid0(SALU_CYCLE_1)
	s_cmp_lg_u64 s[2:3], 0
	s_cbranch_scc0 .LBB13_10
; %bb.1:
	s_ashr_i32 s2, s11, 31
	s_mov_b32 s19, s29
	s_mov_b32 s3, s2
	;; [unrolled: 1-line block ×3, first 2 shown]
	s_add_nc_u64 s[12:13], s[10:11], s[2:3]
	s_delay_alu instid0(SALU_CYCLE_1) | instskip(NEXT) | instid1(SALU_CYCLE_1)
	s_xor_b64 s[2:3], s[12:13], s[2:3]
	s_cvt_f32_u32 s11, s2
	s_cvt_f32_u32 s12, s3
	s_sub_nc_u64 s[14:15], 0, s[2:3]
	s_delay_alu instid0(SALU_CYCLE_2) | instskip(NEXT) | instid1(SALU_CYCLE_3)
	s_fmamk_f32 s11, s12, 0x4f800000, s11
	v_s_rcp_f32 s11, s11
	s_delay_alu instid0(TRANS32_DEP_1) | instskip(NEXT) | instid1(SALU_CYCLE_3)
	s_mul_f32 s11, s11, 0x5f7ffffc
	s_mul_f32 s12, s11, 0x2f800000
	s_delay_alu instid0(SALU_CYCLE_3) | instskip(NEXT) | instid1(SALU_CYCLE_3)
	s_trunc_f32 s12, s12
	s_fmamk_f32 s11, s12, 0xcf800000, s11
	s_cvt_u32_f32 s13, s12
	s_delay_alu instid0(SALU_CYCLE_2) | instskip(NEXT) | instid1(SALU_CYCLE_3)
	s_cvt_u32_f32 s12, s11
	s_mul_u64 s[20:21], s[14:15], s[12:13]
	s_delay_alu instid0(SALU_CYCLE_1)
	s_mul_hi_u32 s25, s12, s21
	s_mul_i32 s24, s12, s21
	s_mul_hi_u32 s18, s12, s20
	s_mul_i32 s22, s13, s20
	s_add_nc_u64 s[18:19], s[18:19], s[24:25]
	s_mul_hi_u32 s11, s13, s20
	s_mul_hi_u32 s26, s13, s21
	s_add_co_u32 s18, s18, s22
	s_add_co_ci_u32 s22, s19, s11
	s_mul_i32 s20, s13, s21
	s_add_co_ci_u32 s21, s26, 0
	s_delay_alu instid0(SALU_CYCLE_1) | instskip(SKIP_3) | instid1(SALU_CYCLE_1)
	s_add_nc_u64 s[18:19], s[22:23], s[20:21]
	s_mov_b32 s21, s29
	s_add_co_u32 s12, s12, s18
	s_cselect_b32 s11, -1, 0
	s_cmp_lg_u32 s11, 0
	s_add_co_ci_u32 s13, s13, s19
	s_mov_b32 s19, s29
	s_mul_u64 s[14:15], s[14:15], s[12:13]
	s_delay_alu instid0(SALU_CYCLE_1)
	s_mul_hi_u32 s23, s12, s15
	s_mul_i32 s22, s12, s15
	s_mul_hi_u32 s18, s12, s14
	s_mul_i32 s20, s13, s14
	s_add_nc_u64 s[18:19], s[18:19], s[22:23]
	s_mul_hi_u32 s11, s13, s14
	s_mul_hi_u32 s24, s13, s15
	s_mul_i32 s14, s13, s15
	s_add_co_u32 s15, s18, s20
	s_add_co_ci_u32 s20, s19, s11
	s_add_co_ci_u32 s15, s24, 0
	s_add_nc_u64 s[18:19], s[28:29], 0
	s_add_nc_u64 s[14:15], s[20:21], s[14:15]
	s_delay_alu instid0(SALU_CYCLE_1) | instskip(SKIP_1) | instid1(SALU_CYCLE_1)
	s_add_co_u32 s11, s12, s14
	s_cselect_b32 s12, -1, 0
	s_cmp_lg_u32 s12, 0
	s_add_co_ci_u32 s14, s13, s15
	s_xor_b64 s[12:13], s[18:19], 0
	s_mov_b32 s15, s29
	s_mul_hi_u32 s19, s12, s14
	s_mul_i32 s18, s12, s14
	s_mul_hi_u32 s20, s12, s11
	s_mul_hi_u32 s23, s13, s11
	s_mul_i32 s11, s13, s11
	s_add_nc_u64 s[18:19], s[20:21], s[18:19]
	s_mul_hi_u32 s22, s13, s14
	s_add_co_u32 s11, s18, s11
	s_mul_i32 s20, s13, s14
	s_add_co_ci_u32 s14, s19, s23
	s_add_co_ci_u32 s21, s22, 0
	s_delay_alu instid0(SALU_CYCLE_1) | instskip(NEXT) | instid1(SALU_CYCLE_1)
	s_add_nc_u64 s[14:15], s[14:15], s[20:21]
	s_and_b64 s[18:19], s[14:15], 0xffffffff00000000
	s_delay_alu instid0(SALU_CYCLE_1) | instskip(NEXT) | instid1(SALU_CYCLE_1)
	s_or_b32 s18, s18, s14
	s_mul_u64 s[14:15], s[2:3], s[18:19]
	s_delay_alu instid0(SALU_CYCLE_1)
	s_sub_co_u32 s11, s12, s14
	s_cselect_b32 s12, -1, 0
	s_sub_co_i32 s14, s13, s15
	s_cmp_lg_u32 s12, 0
	s_sub_co_ci_u32 s14, s14, s3
	s_sub_co_u32 s18, s11, s2
	s_cselect_b32 s19, -1, 0
	s_delay_alu instid0(SALU_CYCLE_1) | instskip(SKIP_1) | instid1(SALU_CYCLE_1)
	s_cmp_lg_u32 s19, 0
	s_sub_co_ci_u32 s20, s14, 0
	s_cmp_ge_u32 s20, s3
	s_cselect_b32 s21, -1, 0
	s_cmp_ge_u32 s18, s2
	s_cselect_b32 s22, -1, 0
	s_cmp_eq_u32 s20, s3
	s_cselect_b32 s21, s22, s21
	s_cmp_lg_u32 s19, 0
	s_sub_co_ci_u32 s14, s14, s3
	s_sub_co_u32 s19, s18, s2
	s_cselect_b32 s22, -1, 0
	s_delay_alu instid0(SALU_CYCLE_1)
	s_cmp_lg_u32 s22, 0
	s_sub_co_ci_u32 s14, s14, 0
	s_cmp_lg_u32 s21, 0
	s_cselect_b32 s18, s19, s18
	s_cselect_b32 s14, s14, s20
	s_cmp_lg_u32 s12, 0
	s_sub_co_ci_u32 s12, s13, s15
	s_delay_alu instid0(SALU_CYCLE_1)
	s_cmp_ge_u32 s12, s3
	s_cselect_b32 s13, -1, 0
	s_cmp_ge_u32 s11, s2
	s_cselect_b32 s2, -1, 0
	s_cmp_eq_u32 s12, s3
	s_cselect_b32 s2, s2, s13
	s_delay_alu instid0(SALU_CYCLE_1) | instskip(SKIP_2) | instid1(SALU_CYCLE_1)
	s_cmp_lg_u32 s2, 0
	s_cselect_b32 s3, s14, s12
	s_cselect_b32 s2, s18, s11
	s_xor_b64 s[2:3], s[2:3], 0
	s_delay_alu instid0(SALU_CYCLE_1)
	s_sub_nc_u64 s[12:13], s[2:3], 0
	s_and_not1_b32 vcc_lo, exec_lo, s29
	s_cbranch_vccnz .LBB13_3
.LBB13_2:
	v_cvt_f32_u32_e32 v1, s10
	s_sub_co_i32 s3, 0, s10
	s_mov_b32 s13, 0
	s_delay_alu instid0(VALU_DEP_1) | instskip(SKIP_1) | instid1(TRANS32_DEP_1)
	v_rcp_iflag_f32_e32 v1, v1
	v_nop
	v_mul_f32_e32 v1, 0x4f7ffffe, v1
	s_delay_alu instid0(VALU_DEP_1) | instskip(NEXT) | instid1(VALU_DEP_1)
	v_cvt_u32_f32_e32 v1, v1
	v_readfirstlane_b32 s2, v1
	s_mul_i32 s3, s3, s2
	s_delay_alu instid0(SALU_CYCLE_1) | instskip(NEXT) | instid1(SALU_CYCLE_1)
	s_mul_hi_u32 s3, s2, s3
	s_add_co_i32 s2, s2, s3
	s_delay_alu instid0(SALU_CYCLE_1) | instskip(NEXT) | instid1(SALU_CYCLE_1)
	s_mul_hi_u32 s2, s28, s2
	s_mul_i32 s2, s2, s10
	s_delay_alu instid0(SALU_CYCLE_1) | instskip(NEXT) | instid1(SALU_CYCLE_1)
	s_sub_co_i32 s2, s28, s2
	s_sub_co_i32 s3, s2, s10
	s_cmp_ge_u32 s2, s10
	s_cselect_b32 s2, s3, s2
	s_delay_alu instid0(SALU_CYCLE_1)
	s_sub_co_i32 s3, s2, s10
	s_cmp_ge_u32 s2, s10
	s_cselect_b32 s12, s3, s2
.LBB13_3:
	s_load_b64 s[2:3], s[0:1], 0x90
	s_bfe_u32 s10, ttmp6, 0x40014
	s_lshr_b32 s11, ttmp7, 16
	s_add_co_i32 s10, s10, 1
	s_bfe_u32 s14, ttmp6, 0x40008
	s_mul_i32 s10, s11, s10
	s_delay_alu instid0(SALU_CYCLE_1)
	s_add_co_i32 s14, s14, s10
	s_cmp_eq_u32 s30, 0
	s_cselect_b32 s10, s11, s14
	s_and_b64 s[14:15], s[16:17], 0xffffffff00000000
	s_mov_b32 s11, 0
	s_cmp_lg_u64 s[14:15], 0
	s_cbranch_scc0 .LBB13_11
; %bb.4:
	s_ashr_i32 s14, s17, 31
	s_mov_b32 s23, s11
	s_mov_b32 s15, s14
	;; [unrolled: 1-line block ×3, first 2 shown]
	s_add_nc_u64 s[18:19], s[16:17], s[14:15]
	s_delay_alu instid0(SALU_CYCLE_1) | instskip(NEXT) | instid1(SALU_CYCLE_1)
	s_xor_b64 s[14:15], s[18:19], s[14:15]
	s_cvt_f32_u32 s17, s14
	s_cvt_f32_u32 s18, s15
	s_sub_nc_u64 s[20:21], 0, s[14:15]
	s_delay_alu instid0(SALU_CYCLE_2) | instskip(NEXT) | instid1(SALU_CYCLE_3)
	s_fmamk_f32 s17, s18, 0x4f800000, s17
	v_s_rcp_f32 s17, s17
	s_delay_alu instid0(TRANS32_DEP_1) | instskip(NEXT) | instid1(SALU_CYCLE_3)
	s_mul_f32 s17, s17, 0x5f7ffffc
	s_mul_f32 s18, s17, 0x2f800000
	s_delay_alu instid0(SALU_CYCLE_3) | instskip(NEXT) | instid1(SALU_CYCLE_3)
	s_trunc_f32 s18, s18
	s_fmamk_f32 s17, s18, 0xcf800000, s17
	s_cvt_u32_f32 s19, s18
	s_delay_alu instid0(SALU_CYCLE_2) | instskip(NEXT) | instid1(SALU_CYCLE_3)
	s_cvt_u32_f32 s18, s17
	s_mul_u64 s[24:25], s[20:21], s[18:19]
	s_delay_alu instid0(SALU_CYCLE_1)
	s_mul_hi_u32 s35, s18, s25
	s_mul_i32 s34, s18, s25
	s_mul_hi_u32 s22, s18, s24
	s_mul_i32 s26, s19, s24
	s_add_nc_u64 s[22:23], s[22:23], s[34:35]
	s_mul_hi_u32 s17, s19, s24
	s_mul_hi_u32 s29, s19, s25
	s_add_co_u32 s22, s22, s26
	s_add_co_ci_u32 s26, s23, s17
	s_mul_i32 s24, s19, s25
	s_add_co_ci_u32 s25, s29, 0
	s_delay_alu instid0(SALU_CYCLE_1) | instskip(SKIP_3) | instid1(SALU_CYCLE_1)
	s_add_nc_u64 s[22:23], s[26:27], s[24:25]
	s_mov_b32 s25, s11
	s_add_co_u32 s18, s18, s22
	s_cselect_b32 s17, -1, 0
	s_cmp_lg_u32 s17, 0
	s_add_co_ci_u32 s19, s19, s23
	s_mov_b32 s23, s11
	s_mul_u64 s[20:21], s[20:21], s[18:19]
	s_delay_alu instid0(SALU_CYCLE_1)
	s_mul_hi_u32 s27, s18, s21
	s_mul_i32 s26, s18, s21
	s_mul_hi_u32 s22, s18, s20
	s_mul_i32 s24, s19, s20
	s_add_nc_u64 s[22:23], s[22:23], s[26:27]
	s_mul_hi_u32 s17, s19, s20
	s_mul_hi_u32 s29, s19, s21
	s_mul_i32 s20, s19, s21
	s_add_co_u32 s21, s22, s24
	s_add_co_ci_u32 s24, s23, s17
	s_add_co_ci_u32 s21, s29, 0
	s_add_nc_u64 s[22:23], s[10:11], 0
	s_add_nc_u64 s[20:21], s[24:25], s[20:21]
	s_delay_alu instid0(SALU_CYCLE_1) | instskip(SKIP_1) | instid1(SALU_CYCLE_1)
	s_add_co_u32 s17, s18, s20
	s_cselect_b32 s18, -1, 0
	s_cmp_lg_u32 s18, 0
	s_add_co_ci_u32 s20, s19, s21
	s_xor_b64 s[18:19], s[22:23], 0
	s_mov_b32 s21, s11
	s_mul_hi_u32 s23, s18, s20
	s_mul_i32 s22, s18, s20
	s_mul_hi_u32 s24, s18, s17
	s_mul_hi_u32 s27, s19, s17
	s_mul_i32 s17, s19, s17
	s_add_nc_u64 s[22:23], s[24:25], s[22:23]
	s_mul_hi_u32 s26, s19, s20
	s_add_co_u32 s17, s22, s17
	s_mul_i32 s24, s19, s20
	s_add_co_ci_u32 s20, s23, s27
	s_add_co_ci_u32 s25, s26, 0
	s_delay_alu instid0(SALU_CYCLE_1) | instskip(NEXT) | instid1(SALU_CYCLE_1)
	s_add_nc_u64 s[20:21], s[20:21], s[24:25]
	s_and_b64 s[22:23], s[20:21], 0xffffffff00000000
	s_delay_alu instid0(SALU_CYCLE_1) | instskip(NEXT) | instid1(SALU_CYCLE_1)
	s_or_b32 s22, s22, s20
	s_mul_u64 s[20:21], s[14:15], s[22:23]
	s_delay_alu instid0(SALU_CYCLE_1)
	s_sub_co_u32 s17, s18, s20
	s_cselect_b32 s18, -1, 0
	s_sub_co_i32 s20, s19, s21
	s_cmp_lg_u32 s18, 0
	s_sub_co_ci_u32 s20, s20, s15
	s_sub_co_u32 s22, s17, s14
	s_cselect_b32 s23, -1, 0
	s_delay_alu instid0(SALU_CYCLE_1) | instskip(SKIP_1) | instid1(SALU_CYCLE_1)
	s_cmp_lg_u32 s23, 0
	s_sub_co_ci_u32 s24, s20, 0
	s_cmp_ge_u32 s24, s15
	s_cselect_b32 s25, -1, 0
	s_cmp_ge_u32 s22, s14
	s_cselect_b32 s26, -1, 0
	s_cmp_eq_u32 s24, s15
	s_cselect_b32 s25, s26, s25
	s_cmp_lg_u32 s23, 0
	s_sub_co_ci_u32 s20, s20, s15
	s_sub_co_u32 s23, s22, s14
	s_cselect_b32 s26, -1, 0
	s_delay_alu instid0(SALU_CYCLE_1)
	s_cmp_lg_u32 s26, 0
	s_sub_co_ci_u32 s20, s20, 0
	s_cmp_lg_u32 s25, 0
	s_cselect_b32 s22, s23, s22
	s_cselect_b32 s20, s20, s24
	s_cmp_lg_u32 s18, 0
	s_sub_co_ci_u32 s18, s19, s21
	s_delay_alu instid0(SALU_CYCLE_1)
	s_cmp_ge_u32 s18, s15
	s_cselect_b32 s19, -1, 0
	s_cmp_ge_u32 s17, s14
	s_cselect_b32 s14, -1, 0
	s_cmp_eq_u32 s18, s15
	s_cselect_b32 s14, s14, s19
	s_delay_alu instid0(SALU_CYCLE_1) | instskip(SKIP_2) | instid1(SALU_CYCLE_1)
	s_cmp_lg_u32 s14, 0
	s_cselect_b32 s15, s20, s18
	s_cselect_b32 s14, s22, s17
	s_xor_b64 s[14:15], s[14:15], 0
	s_delay_alu instid0(SALU_CYCLE_1)
	s_sub_nc_u64 s[14:15], s[14:15], 0
	s_and_not1_b32 vcc_lo, exec_lo, s11
	s_cbranch_vccnz .LBB13_6
.LBB13_5:
	v_cvt_f32_u32_e32 v1, s16
	s_sub_co_i32 s14, 0, s16
	s_mov_b32 s15, 0
	s_delay_alu instid0(VALU_DEP_1) | instskip(SKIP_1) | instid1(TRANS32_DEP_1)
	v_rcp_iflag_f32_e32 v1, v1
	v_nop
	v_mul_f32_e32 v1, 0x4f7ffffe, v1
	s_delay_alu instid0(VALU_DEP_1) | instskip(NEXT) | instid1(VALU_DEP_1)
	v_cvt_u32_f32_e32 v1, v1
	v_readfirstlane_b32 s11, v1
	s_mul_i32 s14, s14, s11
	s_delay_alu instid0(SALU_CYCLE_1) | instskip(NEXT) | instid1(SALU_CYCLE_1)
	s_mul_hi_u32 s14, s11, s14
	s_add_co_i32 s11, s11, s14
	s_delay_alu instid0(SALU_CYCLE_1) | instskip(NEXT) | instid1(SALU_CYCLE_1)
	s_mul_hi_u32 s11, s10, s11
	s_mul_i32 s11, s11, s16
	s_delay_alu instid0(SALU_CYCLE_1) | instskip(NEXT) | instid1(SALU_CYCLE_1)
	s_sub_co_i32 s11, s10, s11
	s_sub_co_i32 s14, s11, s16
	s_cmp_ge_u32 s11, s16
	s_cselect_b32 s11, s14, s11
	s_delay_alu instid0(SALU_CYCLE_1)
	s_sub_co_i32 s14, s11, s16
	s_cmp_ge_u32 s11, s16
	s_cselect_b32 s14, s14, s11
.LBB13_6:
	s_clause 0x1
	s_load_b64 s[34:35], s[0:1], 0x30
	s_load_b64 s[16:17], s[0:1], 0xa0
	v_mov_b32_e32 v1, 1.0
	s_wait_kmcnt 0x0
	s_cmp_le_f32 s3, 0
	s_add_nc_u64 s[18:19], s[0:1], 0xa0
	s_cbranch_scc1 .LBB13_8
; %bb.7:
	s_clause 0x1
	s_load_b32 s3, s[0:1], 0x28
	s_load_b64 s[20:21], s[0:1], 0x98
	s_add_co_i32 s22, s28, 1
	s_wait_kmcnt 0x0
	s_sub_co_i32 s11, s28, s3
	s_delay_alu instid0(SALU_CYCLE_1) | instskip(NEXT) | instid1(SALU_CYCLE_1)
	s_lshl_b32 s11, s11, 1
	s_or_b32 s11, s11, 1
	s_cmp_lt_u32 s28, s3
	s_cselect_b32 s3, s22, s11
	s_cselect_b32 s20, s20, s21
	s_cvt_f32_i32 s3, s3
	s_cmp_neq_f32 s20, 1.0
	s_delay_alu instid0(SALU_CYCLE_2) | instskip(NEXT) | instid1(SALU_CYCLE_1)
	s_cselect_b32 s11, s3, 1.0
	s_cmp_neq_f32 s11, 0
	s_cselect_b32 s3, s20, 1.0
	s_delay_alu instid0(SALU_CYCLE_1) | instskip(NEXT) | instid1(VALU_DEP_1)
	v_cvt_f64_f32_e64 v[2:3], |s3|
	v_frexp_exp_i32_f64_e32 v1, v[2:3]
	v_frexp_mant_f32_e64 v2, |s3|
	s_delay_alu instid0(VALU_DEP_1) | instskip(SKIP_2) | instid1(SALU_CYCLE_1)
	v_readfirstlane_b32 s20, v2
	s_cmp_lt_f32 s20, 0x3f2aaaab
	s_cselect_b32 vcc_lo, -1, 0
	s_and_b32 s21, vcc_lo, exec_lo
	s_cselect_b32 s21, 2.0, 1.0
	s_delay_alu instid0(SALU_CYCLE_1) | instskip(NEXT) | instid1(SALU_CYCLE_3)
	s_mul_f32 s20, s20, s21
	s_add_f32 s21, s20, 1.0
	s_add_f32 s23, s20, -1.0
	s_delay_alu instid0(SALU_CYCLE_2) | instskip(SKIP_2) | instid1(SALU_CYCLE_2)
	v_s_rcp_f32 s22, s21
	s_add_f32 s26, s21, -1.0
	v_subrev_co_ci_u32_e64 v1, null, 0, v1, vcc_lo
	s_sub_f32 s20, s20, s26
	s_delay_alu instid0(TRANS32_DEP_1) | instskip(SKIP_1) | instid1(SALU_CYCLE_2)
	s_mul_f32 s24, s23, s22
	v_cvt_f32_i32_e32 v1, v1
	s_mul_f32 s25, s21, s24
	s_delay_alu instid0(SALU_CYCLE_3) | instskip(SKIP_1) | instid1(SALU_CYCLE_1)
	v_dual_mov_b32 v3, s23 :: v_dual_mov_b32 v4, s25
	s_xor_b32 s27, s25, 0x80000000
	s_fmac_f32 s27, s24, s21
	s_delay_alu instid0(SALU_CYCLE_3) | instskip(NEXT) | instid1(SALU_CYCLE_3)
	s_fmac_f32 s27, s24, s20
	s_add_f32 s20, s25, s27
	v_mov_b32_e32 v6, s27
	s_mov_b32 s25, 0x3e76c4e1
	s_delay_alu instid0(SALU_CYCLE_1) | instskip(SKIP_1) | instid1(SALU_CYCLE_2)
	s_sub_f32 s21, s23, s20
	v_dual_mov_b32 v2, s20 :: v_dual_mov_b32 v7, s20
	v_mov_b32_e32 v5, s21
	s_delay_alu instid0(VALU_DEP_1) | instskip(NEXT) | instid1(VALU_DEP_1)
	v_pk_add_f32 v[2:3], v[2:3], v[4:5] neg_lo:[0,1] neg_hi:[0,1]
	v_pk_add_f32 v[2:3], v[2:3], v[6:7] neg_lo:[0,1] neg_hi:[0,1]
	s_delay_alu instid0(VALU_DEP_1) | instskip(NEXT) | instid1(VALU_DEP_2)
	v_readfirstlane_b32 s20, v3
	v_readfirstlane_b32 s23, v2
	s_add_f32 s20, s23, s20
	s_delay_alu instid0(SALU_CYCLE_3) | instskip(NEXT) | instid1(SALU_CYCLE_3)
	s_add_f32 s20, s21, s20
	s_mul_f32 s21, s22, s20
	s_delay_alu instid0(SALU_CYCLE_3) | instskip(NEXT) | instid1(SALU_CYCLE_3)
	s_add_f32 s20, s24, s21
	s_sub_f32 s22, s20, s24
	s_mul_f32 s23, s20, s20
	s_delay_alu instid0(SALU_CYCLE_2) | instskip(NEXT) | instid1(SALU_CYCLE_2)
	s_sub_f32 s24, s21, s22
	s_xor_b32 s21, s23, 0x80000000
	s_delay_alu instid0(SALU_CYCLE_1) | instskip(NEXT) | instid1(SALU_CYCLE_1)
	s_fmac_f32 s21, s20, s20
	s_add_f32 s22, s24, s24
	s_delay_alu instid0(SALU_CYCLE_3) | instskip(NEXT) | instid1(SALU_CYCLE_3)
	s_fmac_f32 s21, s20, s22
	s_add_f32 s22, s23, s21
	s_delay_alu instid0(SALU_CYCLE_3) | instskip(SKIP_1) | instid1(SALU_CYCLE_2)
	s_fmaak_f32 s25, s22, s25, 0x3e91f4c4
	s_sub_f32 s23, s22, s23
	s_fmaak_f32 s25, s22, s25, 0x3ecccdef
	s_delay_alu instid0(SALU_CYCLE_2) | instskip(NEXT) | instid1(SALU_CYCLE_2)
	s_sub_f32 s29, s21, s23
	s_mul_f32 s26, s22, s25
	s_delay_alu instid0(SALU_CYCLE_3) | instskip(NEXT) | instid1(SALU_CYCLE_1)
	s_xor_b32 s27, s26, 0x80000000
	s_fmac_f32 s27, s22, s25
	s_delay_alu instid0(SALU_CYCLE_3) | instskip(NEXT) | instid1(SALU_CYCLE_3)
	s_fmac_f32 s27, s29, s25
	s_add_f32 s23, s26, s27
	s_delay_alu instid0(SALU_CYCLE_3) | instskip(SKIP_1) | instid1(SALU_CYCLE_2)
	s_sub_f32 s21, s23, s26
	s_add_f32 s25, s23, 0x3f2aaaaa
	s_sub_f32 s21, s27, s21
	s_delay_alu instid0(SALU_CYCLE_2) | instskip(NEXT) | instid1(SALU_CYCLE_2)
	s_add_f32 s26, s25, 0xbf2aaaaa
	s_add_f32 s21, s21, 0x31739010
	s_delay_alu instid0(SALU_CYCLE_2) | instskip(NEXT) | instid1(SALU_CYCLE_2)
	s_sub_f32 s23, s23, s26
	v_mov_b64_e32 v[2:3], s[20:21]
	s_delay_alu instid0(SALU_CYCLE_2) | instskip(NEXT) | instid1(VALU_DEP_1)
	v_mov_b64_e32 v[4:5], s[22:23]
	v_pk_mul_f32 v[6:7], v[2:3], v[4:5]
	v_pk_add_f32 v[2:3], v[2:3], v[4:5]
	v_mov_b32_e32 v9, s25
	s_delay_alu instid0(VALU_DEP_3) | instskip(NEXT) | instid1(VALU_DEP_3)
	v_xor_b32_e32 v8, 0x80000000, v6
	v_mov_b32_e32 v7, v3
	s_delay_alu instid0(VALU_DEP_2) | instskip(NEXT) | instid1(VALU_DEP_1)
	v_fmac_f32_e64 v8, s22, s20
	v_fmac_f32_e64 v8, s22, s24
	s_delay_alu instid0(VALU_DEP_1) | instskip(NEXT) | instid1(VALU_DEP_1)
	v_fmac_f32_e64 v8, s29, s20
	v_pk_add_f32 v[4:5], v[6:7], v[8:9]
	s_delay_alu instid0(VALU_DEP_1) | instskip(SKIP_1) | instid1(VALU_DEP_2)
	v_dual_mov_b32 v2, v5 :: v_dual_sub_f32 v7, s25, v5
	v_mul_f32_e32 v12, 0x3f317218, v1
	v_pk_mul_f32 v[10:11], v[4:5], v[2:3]
	s_delay_alu instid0(VALU_DEP_3) | instskip(NEXT) | instid1(VALU_DEP_3)
	v_add_f32_e32 v3, v3, v7
	v_xor_b32_e32 v7, 0x80000000, v12
	s_delay_alu instid0(VALU_DEP_3) | instskip(NEXT) | instid1(VALU_DEP_2)
	v_xor_b32_e32 v2, 0x80000000, v10
	v_dual_sub_f32 v6, v4, v6 :: v_dual_fmac_f32 v7, 0x3f317218, v1
	s_delay_alu instid0(VALU_DEP_2) | instskip(NEXT) | instid1(VALU_DEP_2)
	v_fmac_f32_e32 v2, v4, v5
	v_sub_f32_e32 v6, v8, v6
	s_delay_alu instid0(VALU_DEP_2) | instskip(NEXT) | instid1(VALU_DEP_1)
	v_fmac_f32_e32 v2, v4, v3
	v_fmac_f32_e32 v2, v6, v5
	v_fmamk_f32 v4, v1, 0xb102e308, v7
	v_ldexp_f32 v5, s20, 1
	v_ldexp_f32 v1, s24, 1
	s_delay_alu instid0(VALU_DEP_2) | instskip(NEXT) | instid1(VALU_DEP_1)
	v_dual_add_f32 v13, v10, v2 :: v_dual_mov_b32 v11, v5
	v_pk_add_f32 v[6:7], v[12:13], v[4:5]
	v_dual_mov_b32 v8, v13 :: v_dual_mov_b32 v3, v13
	s_delay_alu instid0(VALU_DEP_2) | instskip(SKIP_1) | instid1(VALU_DEP_2)
	v_dual_mov_b32 v9, v7 :: v_dual_mov_b32 v5, v6
	v_mov_b32_e32 v14, v7
	v_pk_add_f32 v[8:9], v[8:9], v[10:11] neg_lo:[0,1] neg_hi:[0,1]
	s_delay_alu instid0(VALU_DEP_1) | instskip(NEXT) | instid1(VALU_DEP_1)
	v_pk_add_f32 v[2:3], v[2:3], v[8:9] neg_lo:[0,1] neg_hi:[0,1]
	v_add_f32_e32 v1, v1, v2
	s_delay_alu instid0(VALU_DEP_1) | instskip(NEXT) | instid1(VALU_DEP_1)
	v_add_f32_e32 v13, v1, v3
	v_pk_add_f32 v[2:3], v[6:7], v[12:13]
	v_pk_add_f32 v[8:9], v[6:7], v[12:13] neg_lo:[0,1] neg_hi:[0,1]
	s_delay_alu instid0(VALU_DEP_2) | instskip(NEXT) | instid1(VALU_DEP_1)
	v_mov_b32_e32 v9, v3
	v_pk_add_f32 v[10:11], v[4:5], v[8:9]
	v_pk_add_f32 v[4:5], v[4:5], v[8:9] neg_lo:[0,1] neg_hi:[0,1]
	v_dual_mov_b32 v16, v3 :: v_dual_mov_b32 v5, v6
	s_delay_alu instid0(VALU_DEP_3) | instskip(NEXT) | instid1(VALU_DEP_3)
	v_dual_mov_b32 v12, v11 :: v_dual_mov_b32 v17, v11
	v_readfirstlane_b32 s20, v4
	s_delay_alu instid0(VALU_DEP_2) | instskip(NEXT) | instid1(VALU_DEP_2)
	v_pk_add_f32 v[8:9], v[12:13], v[6:7] neg_lo:[0,1] neg_hi:[0,1]
	v_dual_mov_b32 v4, v13 :: v_dual_mov_b32 v10, s20
	s_delay_alu instid0(VALU_DEP_2) | instskip(NEXT) | instid1(VALU_DEP_1)
	v_dual_mov_b32 v15, v8 :: v_dual_mov_b32 v1, v8
	v_pk_add_f32 v[6:7], v[16:17], v[14:15] neg_lo:[0,1] neg_hi:[0,1]
	s_delay_alu instid0(VALU_DEP_2) | instskip(SKIP_1) | instid1(VALU_DEP_3)
	v_pk_add_f32 v[2:3], v[2:3], v[0:1] neg_lo:[0,1] neg_hi:[0,1]
	v_mov_b32_e32 v2, s20
	v_pk_add_f32 v[4:5], v[4:5], v[6:7] neg_lo:[0,1] neg_hi:[0,1]
	s_delay_alu instid0(VALU_DEP_1) | instskip(NEXT) | instid1(VALU_DEP_1)
	v_pk_add_f32 v[2:3], v[2:3], v[4:5]
	v_readfirstlane_b32 s21, v2
	s_delay_alu instid0(VALU_DEP_2) | instskip(NEXT) | instid1(VALU_DEP_1)
	v_mov_b32_e32 v6, v3
	v_pk_add_f32 v[6:7], v[2:3], v[6:7]
	s_delay_alu instid0(VALU_DEP_3) | instskip(NEXT) | instid1(VALU_DEP_2)
	v_mov_b32_e32 v2, s21
	v_pk_add_f32 v[8:9], v[12:13], v[6:7]
	v_mov_b32_e32 v5, v6
	s_delay_alu instid0(VALU_DEP_2) | instskip(NEXT) | instid1(VALU_DEP_1)
	v_readfirstlane_b32 s22, v8
	v_mov_b32_e32 v3, s22
	s_delay_alu instid0(VALU_DEP_1) | instskip(NEXT) | instid1(VALU_DEP_1)
	v_pk_add_f32 v[2:3], v[2:3], v[10:11] neg_lo:[0,1] neg_hi:[0,1]
	v_readfirstlane_b32 s23, v2
	s_delay_alu instid0(VALU_DEP_2) | instskip(SKIP_1) | instid1(VALU_DEP_1)
	v_pk_add_f32 v[2:3], v[4:5], v[2:3] neg_lo:[0,1] neg_hi:[0,1]
	s_sub_f32 s21, s21, s23
	v_readfirstlane_b32 s23, v2
	s_delay_alu instid0(SALU_CYCLE_2) | instskip(SKIP_1) | instid1(SALU_CYCLE_2)
	s_sub_f32 s20, s20, s21
	v_readfirstlane_b32 s21, v3
	s_add_f32 s20, s23, s20
	s_delay_alu instid0(SALU_CYCLE_3) | instskip(NEXT) | instid1(SALU_CYCLE_3)
	s_add_f32 s20, s20, s21
	s_add_f32 s21, s22, s20
	s_delay_alu instid0(SALU_CYCLE_3) | instskip(SKIP_1) | instid1(SALU_CYCLE_2)
	s_mul_f32 s23, s11, s21
	s_sub_f32 s22, s21, s22
	s_xor_b32 s24, s23, 0x80000000
	s_delay_alu instid0(SALU_CYCLE_2) | instskip(SKIP_1) | instid1(SALU_CYCLE_3)
	s_sub_f32 s20, s20, s22
	s_fmac_f32 s24, s11, s21
	s_fmac_f32 s24, s11, s20
	v_cmp_class_f32_e64 s20, s23, 0x204
	s_delay_alu instid0(SALU_CYCLE_2) | instskip(SKIP_1) | instid1(SALU_CYCLE_2)
	s_add_f32 s21, s23, s24
	s_and_b32 s20, s20, exec_lo
	s_sub_f32 s20, s21, s23
	s_cselect_b32 s21, s23, s21
	s_delay_alu instid0(SALU_CYCLE_1) | instskip(NEXT) | instid1(SALU_CYCLE_1)
	s_and_b32 s22, s21, 0x7fffffff
	s_sub_f32 s20, s24, s20
	s_cmp_neq_f32 s22, 0x7f800000
	s_delay_alu instid0(SALU_CYCLE_2) | instskip(SKIP_2) | instid1(SALU_CYCLE_1)
	s_cselect_b32 s20, s20, 0
	s_cmp_eq_f32 s21, 0x42b17218
	s_cselect_b32 s22, 0x37000000, 0
	s_sub_f32 s21, s21, s22
	s_add_f32 s20, s22, s20
	s_delay_alu instid0(SALU_CYCLE_2) | instskip(NEXT) | instid1(SALU_CYCLE_3)
	s_mul_f32 s23, s21, 0x3fb8aa3b
	s_xor_b32 s24, s23, 0x80000000
	s_rndne_f32 s25, s23
	s_fmamk_f32 s24, s21, 0x3fb8aa3b, s24
	s_cmp_nlt_f32 s21, 0xc2ce8ed0
	s_delay_alu instid0(SALU_CYCLE_1) | instskip(NEXT) | instid1(SALU_CYCLE_1)
	s_sub_f32 s23, s23, s25
	s_fmamk_f32 s24, s21, 0x32a5705f, s24
	s_cselect_b32 vcc_lo, -1, 0
	s_cmp_ngt_f32 s21, 0x42b17218
	s_trunc_f32 s21, s11
	s_add_f32 s23, s23, s24
	s_cvt_i32_f32 s24, s25
	s_delay_alu instid0(SALU_CYCLE_2)
	v_s_exp_f32 s23, s23
	v_nop
	s_delay_alu instid0(TRANS32_DEP_1) | instid1(SALU_CYCLE_1)
	v_ldexp_f32 v1, s23, s24
	s_mul_f32 s23, s11, 0.5
	s_delay_alu instid0(VALU_DEP_1) | instskip(SKIP_3) | instid1(VALU_DEP_1)
	v_cndmask_b32_e32 v1, 0, v1, vcc_lo
	s_cselect_b32 vcc_lo, -1, 0
	s_cmp_eq_f32 s21, s11
	s_trunc_f32 s24, s23
	v_cndmask_b32_e32 v1, 0x7f800000, v1, vcc_lo
	s_cselect_b32 s25, -1, 0
	s_delay_alu instid0(SALU_CYCLE_1) | instskip(NEXT) | instid1(VALU_DEP_1)
	s_cmp_neq_f32 s24, s23
	v_fma_f32 v2, s20, v1, v1
	v_cmp_class_f32_e64 vcc_lo, v1, 0x204
	s_cselect_b32 s22, -1, 0
	s_delay_alu instid0(SALU_CYCLE_1)
	s_and_b32 s20, s25, s22
	v_cndmask_b32_e32 v1, v2, v1, vcc_lo
	s_and_b32 s22, s20, exec_lo
	s_cselect_b32 s22, s3, 1.0
	s_cmp_eq_f32 s21, s11
	v_cmp_class_f32_e64 s21, s3, 0x204
	v_bfi_b32 v1, 0x7fffffff, v1, s22
	s_cselect_b32 vcc_lo, -1, 0
	s_cmp_lt_f32 s3, 0
	s_delay_alu instid0(VALU_DEP_1) | instskip(SKIP_2) | instid1(VALU_DEP_1)
	v_cndmask_b32_e32 v2, 0x7fc00000, v1, vcc_lo
	s_cselect_b32 vcc_lo, -1, 0
	s_cmp_eq_f32 s3, 0
	v_cndmask_b32_e32 v1, v1, v2, vcc_lo
	s_cselect_b32 s22, -1, 0
	s_delay_alu instid0(SALU_CYCLE_1) | instskip(SKIP_2) | instid1(SALU_CYCLE_1)
	s_or_b32 vcc_lo, s22, s21
	s_cmp_lt_f32 s11, 0
	s_cselect_b32 s11, -1, 0
	s_xor_b32 s11, s11, s22
	s_delay_alu instid0(SALU_CYCLE_1)
	s_and_b32 s11, s11, exec_lo
	s_cselect_b32 s11, 0, 0x7f800000
	s_and_b32 s20, s20, exec_lo
	s_cselect_b32 s20, s3, 0
	s_cmp_o_f32 s3, s3
	v_mov_b32_e32 v2, s20
	s_delay_alu instid0(VALU_DEP_1) | instskip(NEXT) | instid1(VALU_DEP_1)
	v_bfi_b32 v2, 0x7fffffff, s11, v2
	v_cndmask_b32_e32 v1, v1, v2, vcc_lo
	s_cselect_b32 vcc_lo, -1, 0
	s_delay_alu instid0(VALU_DEP_1)
	v_cndmask_b32_e32 v1, 0x7fc00000, v1, vcc_lo
.LBB13_8:
	s_load_b256 s[20:27], s[0:1], 0x0
	s_load_b32 s3, s[18:19], 0xc
	s_wait_kmcnt 0x0
	s_cmp_lg_u64 s[24:25], 0
	s_cselect_b32 s29, -1, 0
	s_cmp_eq_u64 s[24:25], 0
	s_cbranch_scc1 .LBB13_12
; %bb.9:
	s_load_b32 s0, s[24:25], s28 offset:0x0 scale_offset
	s_branch .LBB13_13
.LBB13_10:
                                        ; implicit-def: $sgpr12_sgpr13
	s_branch .LBB13_2
.LBB13_11:
                                        ; implicit-def: $sgpr14_sgpr15
	s_branch .LBB13_5
.LBB13_12:
	s_mov_b32 s0, 0xff800000
.LBB13_13:
	s_bfe_u32 s1, ttmp6, 0x4000c
	s_and_b32 s11, ttmp6, 15
	s_add_co_i32 s1, s1, 1
	s_wait_kmcnt 0x0
	v_mov_b32_e32 v6, s0
	s_mul_i32 s1, ttmp9, s1
	s_delay_alu instid0(SALU_CYCLE_1)
	s_add_co_i32 s11, s11, s1
	s_cmp_eq_u32 s30, 0
	s_mul_i32 s1, s17, s10
	s_cselect_b32 s10, ttmp9, s11
	s_add_co_i32 s1, s1, s28
	s_bfe_i64 s[36:37], s[34:35], 0x200000
	s_mul_i32 s1, s1, s16
	s_and_b32 s17, 0xffff, s3
	s_add_co_i32 s38, s1, s10
	s_mov_b32 s11, 0
	s_ashr_i32 s39, s38, 31
	s_cmp_gt_i32 s34, 0
	s_cselect_b32 s35, -1, 0
	s_cmp_lt_i32 s34, 1
	s_cbranch_scc1 .LBB13_21
; %bb.14:
	s_mul_u64 s[4:5], s[4:5], s[10:11]
	s_mul_u64 s[6:7], s[12:13], s[6:7]
	;; [unrolled: 1-line block ×3, first 2 shown]
	s_add_nc_u64 s[4:5], s[6:7], s[4:5]
	v_dual_mov_b32 v5, 0 :: v_dual_lshlrev_b32 v4, 2, v0
	s_add_nc_u64 s[4:5], s[4:5], s[8:9]
	s_mul_u64 s[6:7], s[38:39], s[36:37]
	s_lshr_b64 s[4:5], s[4:5], 1
	s_cmp_lg_u64 s[22:23], 0
	v_lshl_add_u64 v[2:3], s[6:7], 2, v[4:5]
	s_cselect_b32 s1, -1, 0
	v_dual_lshlrev_b32 v4, 1, v0 :: v_dual_mov_b32 v6, s0
	v_cndmask_b32_e64 v7, 0, 1, s1
	s_and_b32 s1, s1, exec_lo
	s_cselect_b32 s5, s5, 0
	s_cselect_b32 s4, s4, 0
	s_lshl_b32 s10, s17, 2
	s_lshl_b64 s[4:5], s[4:5], 1
	s_mov_b32 s1, s11
	s_add_nc_u64 s[4:5], s[22:23], s[4:5]
	s_mov_b32 s3, s11
	v_add_nc_u64_e32 v[4:5], s[4:5], v[4:5]
	s_lshl_b32 s4, s17, 1
	s_mov_b32 s5, s11
	s_branch .LBB13_17
.LBB13_15:                              ;   in Loop: Header=BB13_17 Depth=1
	s_wait_loadcnt 0x0
	s_delay_alu instid0(VALU_DEP_1) | instskip(SKIP_1) | instid1(VALU_DEP_2)
	v_dual_fmac_f32 v9, s2, v8 :: v_dual_max_num_f32 v6, v6, v6
	v_add_nc_u64_e32 v[10:11], s[26:27], v[2:3]
	v_max_num_f32_e32 v6, v6, v9
	global_store_b32 v[10:11], v9, off
.LBB13_16:                              ;   in Loop: Header=BB13_17 Depth=1
	s_wait_xcnt 0x0
	s_or_b32 exec_lo, exec_lo, s6
	s_add_co_i32 s3, s3, s17
	v_add_nc_u64_e32 v[2:3], s[10:11], v[2:3]
	s_cmp_ge_i32 s3, s34
	v_add_nc_u64_e32 v[4:5], s[4:5], v[4:5]
	s_cselect_b32 s6, -1, 0
	s_xor_b32 s0, s0, -1
	s_delay_alu instid0(SALU_CYCLE_1) | instskip(NEXT) | instid1(SALU_CYCLE_1)
	s_or_b32 s0, s0, s6
	s_and_b32 s0, exec_lo, s0
	s_delay_alu instid0(SALU_CYCLE_1) | instskip(NEXT) | instid1(SALU_CYCLE_1)
	s_or_b32 s1, s0, s1
	s_and_not1_b32 exec_lo, exec_lo, s1
	s_cbranch_execz .LBB13_20
.LBB13_17:                              ; =>This Inner Loop Header: Depth=1
	v_add_nc_u32_e32 v8, s3, v0
	s_delay_alu instid0(VALU_DEP_1)
	v_cmp_gt_i32_e64 s0, s34, v8
	s_and_saveexec_b32 s6, s0
	s_cbranch_execz .LBB13_16
; %bb.18:                               ;   in Loop: Header=BB13_17 Depth=1
	v_add_nc_u64_e32 v[8:9], s[20:21], v[2:3]
	v_cmp_ne_u32_e32 vcc_lo, 1, v7
	global_load_b32 v8, v[8:9], off
	s_wait_xcnt 0x0
	v_mov_b32_e32 v9, 0
	s_cbranch_vccnz .LBB13_15
; %bb.19:                               ;   in Loop: Header=BB13_17 Depth=1
	global_load_u16 v9, v[4:5], off
	s_wait_loadcnt 0x0
	v_cvt_f32_f16_e32 v9, v9
	s_delay_alu instid0(VALU_DEP_1)
	v_mul_f32_e32 v9, v1, v9
	s_branch .LBB13_15
.LBB13_20:
	s_or_b32 exec_lo, exec_lo, s1
.LBB13_21:
	v_mbcnt_lo_u32_b32 v1, -1, 0
	s_cmp_gt_u32 s17, 32
	s_mov_b32 s20, 0
	s_cselect_b32 s21, -1, 0
	s_cmp_lt_u32 s17, 33
	v_dual_max_num_f32 v4, v6, v6 :: v_dual_bitop2_b32 v2, 16, v1 bitop3:0x14
	s_mov_b32 s22, -1
	v_xor_b32_e32 v3, 8, v1
	s_delay_alu instid0(VALU_DEP_2) | instskip(SKIP_1) | instid1(VALU_DEP_3)
	v_cmp_gt_i32_e32 vcc_lo, 32, v2
	v_cndmask_b32_e32 v2, v1, v2, vcc_lo
	v_cmp_gt_i32_e32 vcc_lo, 32, v3
	s_delay_alu instid0(VALU_DEP_2) | instskip(SKIP_3) | instid1(VALU_DEP_1)
	v_dual_lshlrev_b32 v41, 2, v2 :: v_dual_cndmask_b32 v3, v1, v3, vcc_lo
	ds_bpermute_b32 v2, v41, v6
	s_wait_dscnt 0x0
	v_dual_lshlrev_b32 v42, 2, v3 :: v_dual_max_num_f32 v2, v2, v2
	v_dual_max_num_f32 v2, v4, v2 :: v_dual_bitop2_b32 v4, 4, v1 bitop3:0x14
	ds_bpermute_b32 v3, v42, v2
	v_cmp_gt_i32_e32 vcc_lo, 32, v4
	s_wait_dscnt 0x0
	v_dual_cndmask_b32 v4, v1, v4 :: v_dual_max_num_f32 v3, v3, v3
	s_delay_alu instid0(VALU_DEP_1) | instskip(SKIP_3) | instid1(VALU_DEP_1)
	v_dual_max_num_f32 v2, v2, v3 :: v_dual_lshlrev_b32 v43, 2, v4
	ds_bpermute_b32 v3, v43, v2
	s_wait_dscnt 0x0
	v_dual_max_num_f32 v3, v3, v3 :: v_dual_bitop2_b32 v4, 2, v1 bitop3:0x14
	v_cmp_gt_i32_e32 vcc_lo, 32, v4
	s_delay_alu instid0(VALU_DEP_2) | instskip(NEXT) | instid1(VALU_DEP_1)
	v_dual_max_num_f32 v2, v2, v3 :: v_dual_cndmask_b32 v4, v1, v4, vcc_lo
	v_dual_lshlrev_b32 v44, 2, v4 :: v_dual_bitop2_b32 v4, 1, v1 bitop3:0x14
	ds_bpermute_b32 v3, v44, v2
	v_cmp_gt_i32_e32 vcc_lo, 32, v4
	v_cndmask_b32_e32 v1, v1, v4, vcc_lo
	s_wait_dscnt 0x0
	s_delay_alu instid0(VALU_DEP_1) | instskip(NEXT) | instid1(VALU_DEP_1)
	v_dual_lshlrev_b32 v45, 2, v1 :: v_dual_max_num_f32 v3, v3, v3
	v_max_num_f32_e32 v2, v2, v3
	ds_bpermute_b32 v1, v45, v2
	s_wait_dscnt 0x0
	v_max_num_f32_e32 v1, v1, v1
	s_delay_alu instid0(VALU_DEP_1)
	v_max_num_f32_e32 v46, v2, v1
	s_cbranch_scc1 .LBB13_30
; %bb.22:
	s_cmp_gt_u32 s17, 0x400
	s_mov_b32 s22, 0
	s_cselect_b32 s0, -1, 0
	s_and_b32 s1, s17, 31
	s_delay_alu instid0(SALU_CYCLE_1) | instskip(SKIP_1) | instid1(SALU_CYCLE_1)
	s_cmp_lg_u32 s1, 0
	s_cselect_b32 s1, -1, 0
	s_or_b32 s1, s0, s1
	s_mov_b32 s0, -1
	s_and_b32 vcc_lo, exec_lo, s1
	s_mov_b32 s1, 0
	s_cbranch_vccnz .LBB13_33
; %bb.23:
	s_and_not1_b32 vcc_lo, exec_lo, s0
	s_cbranch_vccz .LBB13_34
.LBB13_24:
	s_and_b32 vcc_lo, exec_lo, s22
	s_cbranch_vccz .LBB13_31
.LBB13_25:
	s_and_not1_b32 vcc_lo, exec_lo, s35
	s_cbranch_vccnz .LBB13_39
; %bb.26:
	s_mul_u64 s[2:3], s[38:39], s[36:37]
	v_dual_mov_b32 v3, 0 :: v_dual_lshlrev_b32 v2, 2, v0
	s_lshl_b64 s[2:3], s[2:3], 2
	s_delay_alu instid0(SALU_CYCLE_1)
	s_add_nc_u64 s[2:3], s[26:27], s[2:3]
	s_delay_alu instid0(VALU_DEP_1) | instid1(SALU_CYCLE_1)
	v_add_nc_u64_e32 v[4:5], s[2:3], v[2:3]
	s_mov_b32 s3, 0
	s_lshl_b32 s2, s17, 2
	s_mov_b32 s4, s3
	s_mov_b32 s5, s3
	s_branch .LBB13_28
.LBB13_27:                              ;   in Loop: Header=BB13_28 Depth=1
	s_wait_xcnt 0x0
	s_or_b32 exec_lo, exec_lo, s6
	s_add_co_i32 s5, s5, s17
	v_add_nc_u64_e32 v[4:5], s[2:3], v[4:5]
	s_cmp_ge_i32 s5, s34
	s_cselect_b32 s0, -1, 0
	s_xor_b32 s6, vcc_lo, -1
	s_delay_alu instid0(SALU_CYCLE_1) | instskip(NEXT) | instid1(SALU_CYCLE_1)
	s_or_b32 s0, s6, s0
	s_and_b32 s0, exec_lo, s0
	s_delay_alu instid0(SALU_CYCLE_1) | instskip(NEXT) | instid1(SALU_CYCLE_1)
	s_or_b32 s4, s0, s4
	s_and_not1_b32 exec_lo, exec_lo, s4
	s_cbranch_execz .LBB13_32
.LBB13_28:                              ; =>This Inner Loop Header: Depth=1
	v_add_nc_u32_e32 v1, s5, v0
	s_delay_alu instid0(VALU_DEP_1)
	v_cmp_gt_i32_e32 vcc_lo, s34, v1
	s_and_saveexec_b32 s6, vcc_lo
	s_cbranch_execz .LBB13_27
; %bb.29:                               ;   in Loop: Header=BB13_28 Depth=1
	global_load_b32 v1, v[4:5], off
	s_wait_loadcnt 0x0
	v_sub_f32_e32 v1, v1, v46
	s_delay_alu instid0(VALU_DEP_1) | instskip(NEXT) | instid1(VALU_DEP_1)
	v_mul_f32_e32 v2, 0x3fb8aa3b, v1
	v_fma_f32 v6, 0x3fb8aa3b, v1, -v2
	v_rndne_f32_e32 v7, v2
	s_delay_alu instid0(VALU_DEP_1) | instskip(NEXT) | instid1(VALU_DEP_3)
	v_sub_f32_e32 v2, v2, v7
	v_fmac_f32_e32 v6, 0x32a5705f, v1
	v_cmp_ngt_f32_e64 s0, 0xc2ce8ed0, v1
	s_delay_alu instid0(VALU_DEP_2) | instskip(SKIP_1) | instid1(VALU_DEP_2)
	v_add_f32_e32 v2, v2, v6
	v_cvt_i32_f32_e32 v6, v7
	v_exp_f32_e32 v2, v2
	v_nop
	s_delay_alu instid0(TRANS32_DEP_1) | instskip(NEXT) | instid1(VALU_DEP_1)
	v_ldexp_f32 v2, v2, v6
	v_cndmask_b32_e64 v2, 0, v2, s0
	v_cmp_nlt_f32_e64 s0, 0x42b17218, v1
	s_delay_alu instid0(VALU_DEP_1) | instskip(NEXT) | instid1(VALU_DEP_1)
	v_cndmask_b32_e64 v1, 0x7f800000, v2, s0
	v_add_f32_e32 v3, v3, v1
	global_store_b32 v[4:5], v1, off
	s_branch .LBB13_27
.LBB13_30:
	s_mov_b32 s1, 0
	s_and_b32 vcc_lo, exec_lo, s22
	s_cbranch_vccnz .LBB13_25
.LBB13_31:
	s_mov_b32 s0, 0
                                        ; implicit-def: $vgpr1
	s_and_b32 vcc_lo, exec_lo, s1
	s_cbranch_vccnz .LBB13_45
	s_branch .LBB13_46
.LBB13_32:
	s_or_b32 exec_lo, exec_lo, s4
	s_branch .LBB13_40
.LBB13_33:
	s_get_pc_i64 s[0:1]
	s_add_nc_u64 s[0:1], s[0:1], .str.2@rel64+4
	s_get_pc_i64 s[2:3]
	s_add_nc_u64 s[2:3], s[2:3], .str.3@rel64+4
	s_get_pc_i64 s[4:5]
	s_add_nc_u64 s[4:5], s[4:5], __PRETTY_FUNCTION__._ZL12block_reduceIL19block_reduce_method0ELj0EfET1_S1_PS1_@rel64+4
	v_dual_mov_b32 v47, v0 :: v_dual_mov_b32 v0, s0
	v_dual_mov_b32 v1, s1 :: v_dual_mov_b32 v2, s2
	;; [unrolled: 1-line block ×4, first 2 shown]
	s_get_pc_i64 s[6:7]
	s_add_nc_u64 s[6:7], s[6:7], __assert_fail@rel64+4
	s_mov_b64 s[8:9], s[18:19]
	s_swap_pc_i64 s[30:31], s[6:7]
	v_mov_b32_e32 v0, v47
	s_mov_b32 s1, -1
	s_cbranch_execnz .LBB13_24
.LBB13_34:
	s_delay_alu instid0(VALU_DEP_1) | instskip(SKIP_1) | instid1(VALU_DEP_1)
	v_and_b32_e32 v1, 31, v0
	s_mov_b32 s0, exec_lo
	v_cmpx_eq_u32_e32 0, v1
; %bb.35:
	v_lshrrev_b32_e32 v2, 3, v0
	s_delay_alu instid0(VALU_DEP_1)
	v_add_nc_u32_e32 v2, 0, v2
	ds_store_b32 v2, v46
; %bb.36:
	s_or_b32 exec_lo, exec_lo, s0
	s_lshr_b32 s0, s17, 5
	v_mov_b32_e32 v2, 0xff800000
	v_cmp_gt_u32_e32 vcc_lo, s0, v1
	s_wait_storecnt_dscnt 0x0
	s_barrier_signal -1
	s_barrier_wait -1
	s_and_saveexec_b32 s0, vcc_lo
; %bb.37:
	v_lshl_add_u32 v1, v1, 2, 0
	ds_load_b32 v2, v1
; %bb.38:
	s_or_b32 exec_lo, exec_lo, s0
	s_wait_dscnt 0x0
	ds_bpermute_b32 v1, v41, v2
	s_wait_dscnt 0x0
	v_dual_max_num_f32 v2, v2, v2 :: v_dual_max_num_f32 v1, v1, v1
	s_delay_alu instid0(VALU_DEP_1) | instskip(SKIP_3) | instid1(VALU_DEP_1)
	v_max_num_f32_e32 v1, v2, v1
	ds_bpermute_b32 v2, v42, v1
	s_wait_dscnt 0x0
	v_max_num_f32_e32 v2, v2, v2
	v_max_num_f32_e32 v1, v1, v2
	ds_bpermute_b32 v2, v43, v1
	s_wait_dscnt 0x0
	v_max_num_f32_e32 v2, v2, v2
	s_delay_alu instid0(VALU_DEP_1) | instskip(SKIP_3) | instid1(VALU_DEP_1)
	v_max_num_f32_e32 v1, v1, v2
	ds_bpermute_b32 v2, v44, v1
	s_wait_dscnt 0x0
	v_max_num_f32_e32 v2, v2, v2
	v_max_num_f32_e32 v1, v1, v2
	ds_bpermute_b32 v2, v45, v1
	s_wait_dscnt 0x0
	v_max_num_f32_e32 v2, v2, v2
	s_delay_alu instid0(VALU_DEP_1)
	v_max_num_f32_e32 v46, v1, v2
	s_cbranch_execnz .LBB13_25
	s_branch .LBB13_31
.LBB13_39:
	v_mov_b32_e32 v3, 0
.LBB13_40:
	ds_bpermute_b32 v1, v41, v3
	s_and_not1_b32 vcc_lo, exec_lo, s21
	s_wait_dscnt 0x0
	v_add_f32_e32 v1, v3, v1
	ds_bpermute_b32 v2, v42, v1
	s_wait_dscnt 0x0
	v_add_f32_e32 v1, v1, v2
	ds_bpermute_b32 v2, v43, v1
	;; [unrolled: 3-line block ×4, first 2 shown]
	s_cbranch_vccnz .LBB13_43
; %bb.41:
	s_cmp_gt_u32 s17, 0x400
	s_mov_b32 s20, 0
	s_cselect_b32 s0, -1, 0
	s_and_b32 s2, s17, 31
	s_delay_alu instid0(SALU_CYCLE_1) | instskip(SKIP_1) | instid1(SALU_CYCLE_1)
	s_cmp_lg_u32 s2, 0
	s_cselect_b32 s2, -1, 0
	s_or_b32 s0, s0, s2
	s_delay_alu instid0(SALU_CYCLE_1)
	s_and_b32 vcc_lo, exec_lo, s0
	s_mov_b32 s0, -1
	s_cbranch_vccz .LBB13_44
; %bb.42:
	s_get_pc_i64 s[0:1]
	s_add_nc_u64 s[0:1], s[0:1], .str.2@rel64+4
	s_get_pc_i64 s[2:3]
	s_add_nc_u64 s[2:3], s[2:3], .str.3@rel64+4
	s_get_pc_i64 s[4:5]
	s_add_nc_u64 s[4:5], s[4:5], __PRETTY_FUNCTION__._ZL12block_reduceIL19block_reduce_method1ELj0EfET1_S1_PS1_@rel64+4
	v_dual_mov_b32 v56, v0 :: v_dual_mov_b32 v0, s0
	v_dual_mov_b32 v1, s1 :: v_dual_mov_b32 v2, s2
	;; [unrolled: 1-line block ×4, first 2 shown]
	s_get_pc_i64 s[6:7]
	s_add_nc_u64 s[6:7], s[6:7], __assert_fail@rel64+4
	s_mov_b64 s[8:9], s[18:19]
	s_swap_pc_i64 s[30:31], s[6:7]
	v_mov_b32_e32 v0, v56
	s_mov_b32 s1, -1
	s_mov_b32 s0, 0
	s_branch .LBB13_44
.LBB13_43:
	s_mov_b32 s0, 0
	s_mov_b32 s20, -1
.LBB13_44:
	s_wait_dscnt 0x0
	v_add_f32_e32 v1, v47, v55
	s_and_b32 vcc_lo, exec_lo, s1
	s_cbranch_vccz .LBB13_46
.LBB13_45:
	; divergent unreachable
.LBB13_46:
	s_and_not1_b32 vcc_lo, exec_lo, s0
	s_cbranch_vccz .LBB13_48
; %bb.47:
	s_and_b32 vcc_lo, exec_lo, s20
	s_cbranch_vccnz .LBB13_53
	s_branch .LBB13_60
.LBB13_48:
	v_and_b32_e32 v2, 31, v0
	s_mov_b32 s0, exec_lo
	s_delay_alu instid0(VALU_DEP_1)
	v_cmpx_eq_u32_e32 0, v2
; %bb.49:
	v_lshrrev_b32_e32 v3, 3, v0
	s_delay_alu instid0(VALU_DEP_1)
	v_add_nc_u32_e32 v3, 0, v3
	ds_store_b32 v3, v1
; %bb.50:
	s_or_b32 exec_lo, exec_lo, s0
	s_lshr_b32 s0, s17, 5
	v_mov_b32_e32 v1, 0
	v_cmp_gt_u32_e32 vcc_lo, s0, v2
	s_wait_storecnt_dscnt 0x0
	s_barrier_signal -1
	s_barrier_wait -1
	s_and_saveexec_b32 s0, vcc_lo
; %bb.51:
	v_lshl_add_u32 v1, v2, 2, 0
	ds_load_b32 v1, v1
; %bb.52:
	s_or_b32 exec_lo, exec_lo, s0
	s_wait_dscnt 0x0
	ds_bpermute_b32 v2, v41, v1
	s_wait_dscnt 0x0
	v_add_f32_e32 v1, v1, v2
	ds_bpermute_b32 v2, v42, v1
	s_wait_dscnt 0x0
	v_add_f32_e32 v1, v1, v2
	ds_bpermute_b32 v2, v43, v1
	s_wait_dscnt 0x0
	v_add_f32_e32 v1, v1, v2
	ds_bpermute_b32 v2, v44, v1
	s_wait_dscnt 0x0
	v_add_f32_e32 v1, v1, v2
	ds_bpermute_b32 v2, v45, v1
	s_wait_dscnt 0x0
	v_add_f32_e32 v1, v1, v2
	s_cbranch_execz .LBB13_60
.LBB13_53:
	s_and_not1_b32 vcc_lo, exec_lo, s29
	s_cbranch_vccnz .LBB13_55
; %bb.54:
	v_mov_b32_e32 v2, s28
	global_load_b32 v2, v2, s[24:25] scale_offset
	s_wait_loadcnt 0x0
	v_sub_f32_e32 v2, v2, v46
	s_delay_alu instid0(VALU_DEP_1) | instskip(NEXT) | instid1(VALU_DEP_1)
	v_mul_f32_e32 v3, 0x3fb8aa3b, v2
	v_fma_f32 v4, 0x3fb8aa3b, v2, -v3
	v_rndne_f32_e32 v5, v3
	s_delay_alu instid0(VALU_DEP_1) | instskip(NEXT) | instid1(VALU_DEP_1)
	v_dual_fmamk_f32 v4, v2, 0x32a5705f, v4 :: v_dual_sub_f32 v3, v3, v5
	v_add_f32_e32 v3, v3, v4
	v_cvt_i32_f32_e32 v4, v5
	v_cmp_ngt_f32_e32 vcc_lo, 0xc2ce8ed0, v2
	s_delay_alu instid0(VALU_DEP_3) | instskip(SKIP_1) | instid1(TRANS32_DEP_1)
	v_exp_f32_e32 v3, v3
	v_nop
	v_ldexp_f32 v3, v3, v4
	s_delay_alu instid0(VALU_DEP_1) | instskip(SKIP_1) | instid1(VALU_DEP_2)
	v_cndmask_b32_e32 v3, 0, v3, vcc_lo
	v_cmp_nlt_f32_e32 vcc_lo, 0x42b17218, v2
	v_cndmask_b32_e32 v2, 0x7f800000, v3, vcc_lo
	s_delay_alu instid0(VALU_DEP_1)
	v_add_f32_e32 v1, v1, v2
.LBB13_55:
	s_and_not1_b32 vcc_lo, exec_lo, s35
	s_cbranch_vccnz .LBB13_60
; %bb.56:
	s_delay_alu instid0(VALU_DEP_1) | instskip(SKIP_4) | instid1(SALU_CYCLE_1)
	v_div_scale_f32 v3, null, v1, v1, 1.0
	v_div_scale_f32 v5, vcc_lo, 1.0, v1, 1.0
	s_mul_u64 s[0:1], s[38:39], s[36:37]
	v_rcp_f32_e32 v4, v3
	s_lshl_b64 s[0:1], s[0:1], 2
                                        ; implicit-def: $sgpr4
	s_add_nc_u64 s[0:1], s[26:27], s[0:1]
	v_nop
	s_delay_alu instid0(TRANS32_DEP_1) | instskip(NEXT) | instid1(VALU_DEP_1)
	v_fma_f32 v2, -v3, v4, 1.0
	v_fmac_f32_e32 v4, v2, v4
	s_delay_alu instid0(VALU_DEP_1) | instskip(NEXT) | instid1(VALU_DEP_1)
	v_mul_f32_e32 v6, v5, v4
	v_fma_f32 v2, -v3, v6, v5
	s_delay_alu instid0(VALU_DEP_1) | instskip(NEXT) | instid1(VALU_DEP_1)
	v_fmac_f32_e32 v6, v2, v4
	v_dual_lshlrev_b32 v2, 2, v0 :: v_dual_fma_f32 v5, -v3, v6, v5
	v_mov_b32_e32 v3, 0
	s_delay_alu instid0(VALU_DEP_2) | instskip(NEXT) | instid1(VALU_DEP_2)
	v_div_fmas_f32 v4, v5, v4, v6
	v_add_nc_u64_e32 v[2:3], s[0:1], v[2:3]
	s_mov_b32 s1, 0
	s_lshl_b32 s0, s17, 2
	s_mov_b32 s2, s1
	v_div_fixup_f32 v1, v4, v1, 1.0
	s_mov_b32 s3, s1
	s_branch .LBB13_58
.LBB13_57:                              ;   in Loop: Header=BB13_58 Depth=1
	s_or_b32 exec_lo, exec_lo, s5
	s_delay_alu instid0(SALU_CYCLE_1) | instskip(NEXT) | instid1(SALU_CYCLE_1)
	s_and_b32 s5, exec_lo, s4
	s_or_b32 s2, s5, s2
	s_delay_alu instid0(SALU_CYCLE_1)
	s_and_not1_b32 exec_lo, exec_lo, s2
	s_cbranch_execz .LBB13_60
.LBB13_58:                              ; =>This Inner Loop Header: Depth=1
	v_add_nc_u32_e32 v4, s3, v0
	s_or_b32 s4, s4, exec_lo
	s_mov_b32 s5, exec_lo
	s_delay_alu instid0(VALU_DEP_1)
	v_cmpx_gt_i32_e64 s34, v4
	s_cbranch_execz .LBB13_57
; %bb.59:                               ;   in Loop: Header=BB13_58 Depth=1
	global_load_b32 v4, v[2:3], off
	s_add_co_i32 s3, s3, s17
	s_delay_alu instid0(SALU_CYCLE_1) | instskip(SKIP_3) | instid1(SALU_CYCLE_1)
	s_cmp_ge_i32 s3, s34
	s_cselect_b32 s6, -1, 0
	s_and_not1_b32 s4, s4, exec_lo
	s_and_b32 s6, s6, exec_lo
	s_or_b32 s4, s4, s6
	s_wait_loadcnt 0x0
	v_mul_f32_e32 v4, v1, v4
	global_store_b32 v[2:3], v4, off
	s_wait_xcnt 0x0
	v_add_nc_u64_e32 v[2:3], s[0:1], v[2:3]
	s_branch .LBB13_57
.LBB13_60:
	s_endpgm
	.section	.rodata,"a",@progbits
	.p2align	6, 0x0
	.amdhsa_kernel _ZL12soft_max_f32ILb0ELi0ELi0E6__halfEvPKfPKT2_S2_Pf15soft_max_params
		.amdhsa_group_segment_fixed_size 0
		.amdhsa_private_segment_fixed_size 64
		.amdhsa_kernarg_size 416
		.amdhsa_user_sgpr_count 2
		.amdhsa_user_sgpr_dispatch_ptr 0
		.amdhsa_user_sgpr_queue_ptr 0
		.amdhsa_user_sgpr_kernarg_segment_ptr 1
		.amdhsa_user_sgpr_dispatch_id 0
		.amdhsa_user_sgpr_kernarg_preload_length 0
		.amdhsa_user_sgpr_kernarg_preload_offset 0
		.amdhsa_user_sgpr_private_segment_size 0
		.amdhsa_wavefront_size32 1
		.amdhsa_uses_dynamic_stack 0
		.amdhsa_enable_private_segment 1
		.amdhsa_system_sgpr_workgroup_id_x 1
		.amdhsa_system_sgpr_workgroup_id_y 1
		.amdhsa_system_sgpr_workgroup_id_z 1
		.amdhsa_system_sgpr_workgroup_info 0
		.amdhsa_system_vgpr_workitem_id 0
		.amdhsa_next_free_vgpr 57
		.amdhsa_next_free_sgpr 40
		.amdhsa_named_barrier_count 0
		.amdhsa_reserve_vcc 1
		.amdhsa_float_round_mode_32 0
		.amdhsa_float_round_mode_16_64 0
		.amdhsa_float_denorm_mode_32 3
		.amdhsa_float_denorm_mode_16_64 3
		.amdhsa_fp16_overflow 0
		.amdhsa_memory_ordered 1
		.amdhsa_forward_progress 1
		.amdhsa_inst_pref_size 43
		.amdhsa_round_robin_scheduling 0
		.amdhsa_exception_fp_ieee_invalid_op 0
		.amdhsa_exception_fp_denorm_src 0
		.amdhsa_exception_fp_ieee_div_zero 0
		.amdhsa_exception_fp_ieee_overflow 0
		.amdhsa_exception_fp_ieee_underflow 0
		.amdhsa_exception_fp_ieee_inexact 0
		.amdhsa_exception_int_div_zero 0
	.end_amdhsa_kernel
	.section	.text._ZL12soft_max_f32ILb0ELi0ELi0E6__halfEvPKfPKT2_S2_Pf15soft_max_params,"axG",@progbits,_ZL12soft_max_f32ILb0ELi0ELi0E6__halfEvPKfPKT2_S2_Pf15soft_max_params,comdat
.Lfunc_end13:
	.size	_ZL12soft_max_f32ILb0ELi0ELi0E6__halfEvPKfPKT2_S2_Pf15soft_max_params, .Lfunc_end13-_ZL12soft_max_f32ILb0ELi0ELi0E6__halfEvPKfPKT2_S2_Pf15soft_max_params
                                        ; -- End function
	.set _ZL12soft_max_f32ILb0ELi0ELi0E6__halfEvPKfPKT2_S2_Pf15soft_max_params.num_vgpr, max(57, .L__assert_fail.num_vgpr)
	.set _ZL12soft_max_f32ILb0ELi0ELi0E6__halfEvPKfPKT2_S2_Pf15soft_max_params.num_agpr, max(0, .L__assert_fail.num_agpr)
	.set _ZL12soft_max_f32ILb0ELi0ELi0E6__halfEvPKfPKT2_S2_Pf15soft_max_params.numbered_sgpr, max(40, .L__assert_fail.numbered_sgpr)
	.set _ZL12soft_max_f32ILb0ELi0ELi0E6__halfEvPKfPKT2_S2_Pf15soft_max_params.num_named_barrier, max(0, .L__assert_fail.num_named_barrier)
	.set _ZL12soft_max_f32ILb0ELi0ELi0E6__halfEvPKfPKT2_S2_Pf15soft_max_params.private_seg_size, 0+max(.L__assert_fail.private_seg_size)
	.set _ZL12soft_max_f32ILb0ELi0ELi0E6__halfEvPKfPKT2_S2_Pf15soft_max_params.uses_vcc, or(1, .L__assert_fail.uses_vcc)
	.set _ZL12soft_max_f32ILb0ELi0ELi0E6__halfEvPKfPKT2_S2_Pf15soft_max_params.uses_flat_scratch, or(0, .L__assert_fail.uses_flat_scratch)
	.set _ZL12soft_max_f32ILb0ELi0ELi0E6__halfEvPKfPKT2_S2_Pf15soft_max_params.has_dyn_sized_stack, or(0, .L__assert_fail.has_dyn_sized_stack)
	.set _ZL12soft_max_f32ILb0ELi0ELi0E6__halfEvPKfPKT2_S2_Pf15soft_max_params.has_recursion, or(0, .L__assert_fail.has_recursion)
	.set _ZL12soft_max_f32ILb0ELi0ELi0E6__halfEvPKfPKT2_S2_Pf15soft_max_params.has_indirect_call, or(0, .L__assert_fail.has_indirect_call)
	.section	.AMDGPU.csdata,"",@progbits
; Kernel info:
; codeLenInByte = 5408
; TotalNumSgprs: 42
; NumVgprs: 57
; ScratchSize: 64
; MemoryBound: 0
; FloatMode: 240
; IeeeMode: 1
; LDSByteSize: 0 bytes/workgroup (compile time only)
; SGPRBlocks: 0
; VGPRBlocks: 3
; NumSGPRsForWavesPerEU: 42
; NumVGPRsForWavesPerEU: 57
; NamedBarCnt: 0
; Occupancy: 16
; WaveLimiterHint : 1
; COMPUTE_PGM_RSRC2:SCRATCH_EN: 1
; COMPUTE_PGM_RSRC2:USER_SGPR: 2
; COMPUTE_PGM_RSRC2:TRAP_HANDLER: 0
; COMPUTE_PGM_RSRC2:TGID_X_EN: 1
; COMPUTE_PGM_RSRC2:TGID_Y_EN: 1
; COMPUTE_PGM_RSRC2:TGID_Z_EN: 1
; COMPUTE_PGM_RSRC2:TIDIG_COMP_CNT: 0
	.section	.text._ZL12soft_max_f32ILb1ELi4096ELi1024EfEvPKfPKT2_S1_Pf15soft_max_params,"axG",@progbits,_ZL12soft_max_f32ILb1ELi4096ELi1024EfEvPKfPKT2_S1_Pf15soft_max_params,comdat
	.globl	_ZL12soft_max_f32ILb1ELi4096ELi1024EfEvPKfPKT2_S1_Pf15soft_max_params ; -- Begin function _ZL12soft_max_f32ILb1ELi4096ELi1024EfEvPKfPKT2_S1_Pf15soft_max_params
	.p2align	8
	.type	_ZL12soft_max_f32ILb1ELi4096ELi1024EfEvPKfPKT2_S1_Pf15soft_max_params,@function
_ZL12soft_max_f32ILb1ELi4096ELi1024EfEvPKfPKT2_S1_Pf15soft_max_params: ; @_ZL12soft_max_f32ILb1ELi4096ELi1024EfEvPKfPKT2_S1_Pf15soft_max_params
; %bb.0:
	s_clause 0x1
	s_load_b256 s[4:11], s[0:1], 0x68
	s_load_b64 s[12:13], s[0:1], 0x88
	s_bfe_u32 s2, ttmp6, 0x40010
	s_and_b32 s3, ttmp7, 0xffff
	s_add_co_i32 s2, s2, 1
	s_bfe_u32 s14, ttmp6, 0x40004
	s_mul_i32 s2, s3, s2
	s_getreg_b32 s28, hwreg(HW_REG_IB_STS2, 6, 4)
	s_add_co_i32 s14, s14, s2
	s_cmp_eq_u32 s28, 0
	s_cselect_b32 s2, s3, s14
	s_mov_b32 s3, 0
	s_wait_kmcnt 0x0
	s_and_b64 s[14:15], s[10:11], 0xffffffff00000000
	s_delay_alu instid0(SALU_CYCLE_1)
	s_cmp_lg_u64 s[14:15], 0
	s_cbranch_scc0 .LBB14_10
; %bb.1:
	s_ashr_i32 s14, s11, 31
	s_mov_b32 s21, s3
	s_mov_b32 s15, s14
	;; [unrolled: 1-line block ×3, first 2 shown]
	s_add_nc_u64 s[16:17], s[10:11], s[14:15]
	s_delay_alu instid0(SALU_CYCLE_1) | instskip(NEXT) | instid1(SALU_CYCLE_1)
	s_xor_b64 s[14:15], s[16:17], s[14:15]
	s_cvt_f32_u32 s11, s14
	s_cvt_f32_u32 s16, s15
	s_sub_nc_u64 s[18:19], 0, s[14:15]
	s_delay_alu instid0(SALU_CYCLE_2) | instskip(NEXT) | instid1(SALU_CYCLE_3)
	s_fmamk_f32 s11, s16, 0x4f800000, s11
	v_s_rcp_f32 s11, s11
	s_delay_alu instid0(TRANS32_DEP_1) | instskip(NEXT) | instid1(SALU_CYCLE_3)
	s_mul_f32 s11, s11, 0x5f7ffffc
	s_mul_f32 s16, s11, 0x2f800000
	s_delay_alu instid0(SALU_CYCLE_3) | instskip(NEXT) | instid1(SALU_CYCLE_3)
	s_trunc_f32 s16, s16
	s_fmamk_f32 s11, s16, 0xcf800000, s11
	s_cvt_u32_f32 s17, s16
	s_delay_alu instid0(SALU_CYCLE_2) | instskip(NEXT) | instid1(SALU_CYCLE_3)
	s_cvt_u32_f32 s16, s11
	s_mul_u64 s[22:23], s[18:19], s[16:17]
	s_delay_alu instid0(SALU_CYCLE_1)
	s_mul_hi_u32 s27, s16, s23
	s_mul_i32 s26, s16, s23
	s_mul_hi_u32 s20, s16, s22
	s_mul_i32 s24, s17, s22
	s_add_nc_u64 s[20:21], s[20:21], s[26:27]
	s_mul_hi_u32 s11, s17, s22
	s_mul_hi_u32 s29, s17, s23
	s_add_co_u32 s20, s20, s24
	s_add_co_ci_u32 s24, s21, s11
	s_mul_i32 s22, s17, s23
	s_add_co_ci_u32 s23, s29, 0
	s_delay_alu instid0(SALU_CYCLE_1) | instskip(SKIP_3) | instid1(SALU_CYCLE_1)
	s_add_nc_u64 s[20:21], s[24:25], s[22:23]
	s_mov_b32 s23, s3
	s_add_co_u32 s16, s16, s20
	s_cselect_b32 s11, -1, 0
	s_cmp_lg_u32 s11, 0
	s_add_co_ci_u32 s17, s17, s21
	s_mov_b32 s21, s3
	s_mul_u64 s[18:19], s[18:19], s[16:17]
	s_delay_alu instid0(SALU_CYCLE_1)
	s_mul_hi_u32 s25, s16, s19
	s_mul_i32 s24, s16, s19
	s_mul_hi_u32 s20, s16, s18
	s_mul_i32 s22, s17, s18
	s_add_nc_u64 s[20:21], s[20:21], s[24:25]
	s_mul_hi_u32 s11, s17, s18
	s_mul_hi_u32 s26, s17, s19
	s_mul_i32 s18, s17, s19
	s_add_co_u32 s19, s20, s22
	s_add_co_ci_u32 s22, s21, s11
	s_add_co_ci_u32 s19, s26, 0
	s_add_nc_u64 s[20:21], s[2:3], 0
	s_add_nc_u64 s[18:19], s[22:23], s[18:19]
	s_delay_alu instid0(SALU_CYCLE_1) | instskip(SKIP_1) | instid1(SALU_CYCLE_1)
	s_add_co_u32 s11, s16, s18
	s_cselect_b32 s16, -1, 0
	s_cmp_lg_u32 s16, 0
	s_add_co_ci_u32 s18, s17, s19
	s_xor_b64 s[16:17], s[20:21], 0
	s_mov_b32 s19, s3
	s_mul_hi_u32 s21, s16, s18
	s_mul_i32 s20, s16, s18
	s_mul_hi_u32 s22, s16, s11
	s_mul_hi_u32 s25, s17, s11
	s_mul_i32 s11, s17, s11
	s_add_nc_u64 s[20:21], s[22:23], s[20:21]
	s_mul_hi_u32 s24, s17, s18
	s_add_co_u32 s11, s20, s11
	s_mul_i32 s22, s17, s18
	s_add_co_ci_u32 s18, s21, s25
	s_add_co_ci_u32 s23, s24, 0
	s_delay_alu instid0(SALU_CYCLE_1) | instskip(NEXT) | instid1(SALU_CYCLE_1)
	s_add_nc_u64 s[18:19], s[18:19], s[22:23]
	s_and_b64 s[20:21], s[18:19], 0xffffffff00000000
	s_delay_alu instid0(SALU_CYCLE_1) | instskip(NEXT) | instid1(SALU_CYCLE_1)
	s_or_b32 s20, s20, s18
	s_mul_u64 s[18:19], s[14:15], s[20:21]
	s_delay_alu instid0(SALU_CYCLE_1)
	s_sub_co_u32 s11, s16, s18
	s_cselect_b32 s16, -1, 0
	s_sub_co_i32 s18, s17, s19
	s_cmp_lg_u32 s16, 0
	s_sub_co_ci_u32 s18, s18, s15
	s_sub_co_u32 s20, s11, s14
	s_cselect_b32 s21, -1, 0
	s_delay_alu instid0(SALU_CYCLE_1) | instskip(SKIP_1) | instid1(SALU_CYCLE_1)
	s_cmp_lg_u32 s21, 0
	s_sub_co_ci_u32 s22, s18, 0
	s_cmp_ge_u32 s22, s15
	s_cselect_b32 s23, -1, 0
	s_cmp_ge_u32 s20, s14
	s_cselect_b32 s24, -1, 0
	s_cmp_eq_u32 s22, s15
	s_cselect_b32 s23, s24, s23
	s_cmp_lg_u32 s21, 0
	s_sub_co_ci_u32 s18, s18, s15
	s_sub_co_u32 s21, s20, s14
	s_cselect_b32 s24, -1, 0
	s_delay_alu instid0(SALU_CYCLE_1)
	s_cmp_lg_u32 s24, 0
	s_sub_co_ci_u32 s18, s18, 0
	s_cmp_lg_u32 s23, 0
	s_cselect_b32 s20, s21, s20
	s_cselect_b32 s18, s18, s22
	s_cmp_lg_u32 s16, 0
	s_sub_co_ci_u32 s16, s17, s19
	s_delay_alu instid0(SALU_CYCLE_1)
	s_cmp_ge_u32 s16, s15
	s_cselect_b32 s17, -1, 0
	s_cmp_ge_u32 s11, s14
	s_cselect_b32 s14, -1, 0
	s_cmp_eq_u32 s16, s15
	s_cselect_b32 s14, s14, s17
	s_delay_alu instid0(SALU_CYCLE_1) | instskip(SKIP_2) | instid1(SALU_CYCLE_1)
	s_cmp_lg_u32 s14, 0
	s_cselect_b32 s15, s18, s16
	s_cselect_b32 s14, s20, s11
	s_xor_b64 s[14:15], s[14:15], 0
	s_delay_alu instid0(SALU_CYCLE_1)
	s_sub_nc_u64 s[20:21], s[14:15], 0
	s_and_not1_b32 vcc_lo, exec_lo, s3
	s_cbranch_vccnz .LBB14_3
.LBB14_2:
	v_cvt_f32_u32_e32 v1, s10
	s_sub_co_i32 s11, 0, s10
	s_mov_b32 s21, 0
	s_delay_alu instid0(VALU_DEP_1) | instskip(SKIP_1) | instid1(TRANS32_DEP_1)
	v_rcp_iflag_f32_e32 v1, v1
	v_nop
	v_mul_f32_e32 v1, 0x4f7ffffe, v1
	s_delay_alu instid0(VALU_DEP_1) | instskip(NEXT) | instid1(VALU_DEP_1)
	v_cvt_u32_f32_e32 v1, v1
	v_readfirstlane_b32 s3, v1
	s_mul_i32 s11, s11, s3
	s_delay_alu instid0(SALU_CYCLE_1) | instskip(NEXT) | instid1(SALU_CYCLE_1)
	s_mul_hi_u32 s11, s3, s11
	s_add_co_i32 s3, s3, s11
	s_delay_alu instid0(SALU_CYCLE_1) | instskip(NEXT) | instid1(SALU_CYCLE_1)
	s_mul_hi_u32 s3, s2, s3
	s_mul_i32 s3, s3, s10
	s_delay_alu instid0(SALU_CYCLE_1) | instskip(NEXT) | instid1(SALU_CYCLE_1)
	s_sub_co_i32 s3, s2, s3
	s_sub_co_i32 s11, s3, s10
	s_cmp_ge_u32 s3, s10
	s_cselect_b32 s3, s11, s3
	s_delay_alu instid0(SALU_CYCLE_1)
	s_sub_co_i32 s11, s3, s10
	s_cmp_ge_u32 s3, s10
	s_cselect_b32 s20, s11, s3
.LBB14_3:
	s_load_b64 s[10:11], s[0:1], 0x90
	s_bfe_u32 s3, ttmp6, 0x40014
	s_lshr_b32 s14, ttmp7, 16
	s_add_co_i32 s3, s3, 1
	s_bfe_u32 s15, ttmp6, 0x40008
	s_mul_i32 s3, s14, s3
	s_mov_b32 s23, 0
	s_add_co_i32 s15, s15, s3
	s_cmp_eq_u32 s28, 0
	s_cselect_b32 s22, s14, s15
	s_and_b64 s[14:15], s[12:13], 0xffffffff00000000
	s_delay_alu instid0(SALU_CYCLE_1)
	s_cmp_lg_u64 s[14:15], 0
	s_cbranch_scc0 .LBB14_11
; %bb.4:
	s_ashr_i32 s14, s13, 31
	s_mov_b32 s25, s23
	s_mov_b32 s15, s14
	;; [unrolled: 1-line block ×3, first 2 shown]
	s_add_nc_u64 s[16:17], s[12:13], s[14:15]
	s_delay_alu instid0(SALU_CYCLE_1) | instskip(NEXT) | instid1(SALU_CYCLE_1)
	s_xor_b64 s[14:15], s[16:17], s[14:15]
	s_cvt_f32_u32 s3, s14
	s_cvt_f32_u32 s13, s15
	s_sub_nc_u64 s[18:19], 0, s[14:15]
	s_delay_alu instid0(SALU_CYCLE_2) | instskip(NEXT) | instid1(SALU_CYCLE_3)
	s_fmamk_f32 s3, s13, 0x4f800000, s3
	v_s_rcp_f32 s3, s3
	s_delay_alu instid0(TRANS32_DEP_1) | instskip(NEXT) | instid1(SALU_CYCLE_3)
	s_mul_f32 s3, s3, 0x5f7ffffc
	s_mul_f32 s13, s3, 0x2f800000
	s_delay_alu instid0(SALU_CYCLE_3) | instskip(NEXT) | instid1(SALU_CYCLE_3)
	s_trunc_f32 s13, s13
	s_fmamk_f32 s3, s13, 0xcf800000, s3
	s_cvt_u32_f32 s17, s13
	s_delay_alu instid0(SALU_CYCLE_2) | instskip(NEXT) | instid1(SALU_CYCLE_3)
	s_cvt_u32_f32 s16, s3
	s_mul_u64 s[26:27], s[18:19], s[16:17]
	s_delay_alu instid0(SALU_CYCLE_1)
	s_mul_hi_u32 s35, s16, s27
	s_mul_i32 s34, s16, s27
	s_mul_hi_u32 s24, s16, s26
	s_mul_i32 s13, s17, s26
	s_add_nc_u64 s[24:25], s[24:25], s[34:35]
	s_mul_hi_u32 s3, s17, s26
	s_mul_hi_u32 s29, s17, s27
	s_add_co_u32 s13, s24, s13
	s_add_co_ci_u32 s30, s25, s3
	s_mul_i32 s26, s17, s27
	s_add_co_ci_u32 s27, s29, 0
	s_delay_alu instid0(SALU_CYCLE_1) | instskip(SKIP_3) | instid1(SALU_CYCLE_1)
	s_add_nc_u64 s[24:25], s[30:31], s[26:27]
	s_mov_b32 s27, s23
	s_add_co_u32 s16, s16, s24
	s_cselect_b32 s3, -1, 0
	s_cmp_lg_u32 s3, 0
	s_add_co_ci_u32 s17, s17, s25
	s_mov_b32 s25, s23
	s_mul_u64 s[18:19], s[18:19], s[16:17]
	s_delay_alu instid0(SALU_CYCLE_1)
	s_mul_hi_u32 s31, s16, s19
	s_mul_i32 s30, s16, s19
	s_mul_hi_u32 s24, s16, s18
	s_mul_i32 s13, s17, s18
	s_add_nc_u64 s[24:25], s[24:25], s[30:31]
	s_mul_hi_u32 s3, s17, s18
	s_mul_hi_u32 s29, s17, s19
	s_add_co_u32 s13, s24, s13
	s_add_co_ci_u32 s26, s25, s3
	s_mul_i32 s18, s17, s19
	s_add_co_ci_u32 s19, s29, 0
	s_add_nc_u64 s[24:25], s[22:23], 0
	s_add_nc_u64 s[18:19], s[26:27], s[18:19]
	s_delay_alu instid0(SALU_CYCLE_1) | instskip(SKIP_1) | instid1(SALU_CYCLE_1)
	s_add_co_u32 s3, s16, s18
	s_cselect_b32 s13, -1, 0
	s_cmp_lg_u32 s13, 0
	s_add_co_ci_u32 s13, s17, s19
	s_xor_b64 s[16:17], s[24:25], 0
	s_mov_b32 s19, s23
	s_mul_hi_u32 s25, s16, s13
	s_mul_i32 s24, s16, s13
	s_mul_hi_u32 s26, s16, s3
	s_mul_hi_u32 s18, s17, s3
	s_mul_i32 s3, s17, s3
	s_add_nc_u64 s[24:25], s[26:27], s[24:25]
	s_mul_hi_u32 s29, s17, s13
	s_add_co_u32 s3, s24, s3
	s_add_co_ci_u32 s18, s25, s18
	s_mul_i32 s26, s17, s13
	s_add_co_ci_u32 s27, s29, 0
	s_delay_alu instid0(SALU_CYCLE_1) | instskip(NEXT) | instid1(SALU_CYCLE_1)
	s_add_nc_u64 s[18:19], s[18:19], s[26:27]
	s_and_b64 s[24:25], s[18:19], 0xffffffff00000000
	s_delay_alu instid0(SALU_CYCLE_1) | instskip(NEXT) | instid1(SALU_CYCLE_1)
	s_or_b32 s24, s24, s18
	s_mul_u64 s[18:19], s[14:15], s[24:25]
	s_delay_alu instid0(SALU_CYCLE_1)
	s_sub_co_u32 s3, s16, s18
	s_cselect_b32 s13, -1, 0
	s_sub_co_i32 s16, s17, s19
	s_cmp_lg_u32 s13, 0
	s_sub_co_ci_u32 s16, s16, s15
	s_sub_co_u32 s18, s3, s14
	s_cselect_b32 s24, -1, 0
	s_delay_alu instid0(SALU_CYCLE_1) | instskip(SKIP_1) | instid1(SALU_CYCLE_1)
	s_cmp_lg_u32 s24, 0
	s_sub_co_ci_u32 s25, s16, 0
	s_cmp_ge_u32 s25, s15
	s_cselect_b32 s26, -1, 0
	s_cmp_ge_u32 s18, s14
	s_cselect_b32 s27, -1, 0
	s_cmp_eq_u32 s25, s15
	s_cselect_b32 s26, s27, s26
	s_cmp_lg_u32 s24, 0
	s_sub_co_ci_u32 s16, s16, s15
	s_sub_co_u32 s24, s18, s14
	s_cselect_b32 s27, -1, 0
	s_delay_alu instid0(SALU_CYCLE_1)
	s_cmp_lg_u32 s27, 0
	s_sub_co_ci_u32 s16, s16, 0
	s_cmp_lg_u32 s26, 0
	s_cselect_b32 s18, s24, s18
	s_cselect_b32 s16, s16, s25
	s_cmp_lg_u32 s13, 0
	s_sub_co_ci_u32 s13, s17, s19
	s_delay_alu instid0(SALU_CYCLE_1)
	s_cmp_ge_u32 s13, s15
	s_cselect_b32 s17, -1, 0
	s_cmp_ge_u32 s3, s14
	s_cselect_b32 s14, -1, 0
	s_cmp_eq_u32 s13, s15
	s_cselect_b32 s14, s14, s17
	s_delay_alu instid0(SALU_CYCLE_1) | instskip(SKIP_2) | instid1(SALU_CYCLE_1)
	s_cmp_lg_u32 s14, 0
	s_cselect_b32 s15, s16, s13
	s_cselect_b32 s14, s18, s3
	s_xor_b64 s[14:15], s[14:15], 0
	s_delay_alu instid0(SALU_CYCLE_1)
	s_sub_nc_u64 s[24:25], s[14:15], 0
	s_and_not1_b32 vcc_lo, exec_lo, s23
	s_cbranch_vccnz .LBB14_6
.LBB14_5:
	v_cvt_f32_u32_e32 v1, s12
	s_sub_co_i32 s13, 0, s12
	s_mov_b32 s25, 0
	s_delay_alu instid0(VALU_DEP_1) | instskip(SKIP_1) | instid1(TRANS32_DEP_1)
	v_rcp_iflag_f32_e32 v1, v1
	v_nop
	v_mul_f32_e32 v1, 0x4f7ffffe, v1
	s_delay_alu instid0(VALU_DEP_1) | instskip(NEXT) | instid1(VALU_DEP_1)
	v_cvt_u32_f32_e32 v1, v1
	v_readfirstlane_b32 s3, v1
	s_mul_i32 s13, s13, s3
	s_delay_alu instid0(SALU_CYCLE_1) | instskip(NEXT) | instid1(SALU_CYCLE_1)
	s_mul_hi_u32 s13, s3, s13
	s_add_co_i32 s3, s3, s13
	s_delay_alu instid0(SALU_CYCLE_1) | instskip(NEXT) | instid1(SALU_CYCLE_1)
	s_mul_hi_u32 s3, s22, s3
	s_mul_i32 s3, s3, s12
	s_delay_alu instid0(SALU_CYCLE_1) | instskip(NEXT) | instid1(SALU_CYCLE_1)
	s_sub_co_i32 s3, s22, s3
	s_sub_co_i32 s13, s3, s12
	s_cmp_ge_u32 s3, s12
	s_cselect_b32 s3, s13, s3
	s_delay_alu instid0(SALU_CYCLE_1)
	s_sub_co_i32 s13, s3, s12
	s_cmp_ge_u32 s3, s12
	s_cselect_b32 s24, s13, s3
.LBB14_6:
	s_load_b64 s[26:27], s[0:1], 0xa0
	v_mov_b32_e32 v6, 1.0
	s_wait_kmcnt 0x0
	s_cmp_le_f32 s11, 0
	s_cbranch_scc1 .LBB14_8
; %bb.7:
	s_clause 0x1
	s_load_b32 s3, s[0:1], 0x28
	s_load_b64 s[12:13], s[0:1], 0x98
	s_add_co_i32 s14, s2, 1
	s_wait_kmcnt 0x0
	s_sub_co_i32 s11, s2, s3
	s_delay_alu instid0(SALU_CYCLE_1) | instskip(NEXT) | instid1(SALU_CYCLE_1)
	s_lshl_b32 s11, s11, 1
	s_or_b32 s11, s11, 1
	s_cmp_lt_u32 s2, s3
	s_cselect_b32 s3, s14, s11
	s_cselect_b32 s12, s12, s13
	s_cvt_f32_i32 s3, s3
	s_cmp_neq_f32 s12, 1.0
	s_delay_alu instid0(SALU_CYCLE_2) | instskip(NEXT) | instid1(SALU_CYCLE_1)
	s_cselect_b32 s11, s3, 1.0
	s_cmp_neq_f32 s11, 0
	s_cselect_b32 s3, s12, 1.0
	s_delay_alu instid0(SALU_CYCLE_1) | instskip(NEXT) | instid1(VALU_DEP_1)
	v_cvt_f64_f32_e64 v[2:3], |s3|
	v_frexp_exp_i32_f64_e32 v1, v[2:3]
	v_frexp_mant_f32_e64 v2, |s3|
	s_delay_alu instid0(VALU_DEP_1) | instskip(SKIP_2) | instid1(SALU_CYCLE_1)
	v_readfirstlane_b32 s12, v2
	s_cmp_lt_f32 s12, 0x3f2aaaab
	s_cselect_b32 vcc_lo, -1, 0
	s_and_b32 s13, vcc_lo, exec_lo
	s_cselect_b32 s13, 2.0, 1.0
	s_delay_alu instid0(SALU_CYCLE_1) | instskip(NEXT) | instid1(SALU_CYCLE_3)
	s_mul_f32 s12, s12, s13
	s_add_f32 s13, s12, 1.0
	s_add_f32 s15, s12, -1.0
	s_delay_alu instid0(SALU_CYCLE_2) | instskip(SKIP_2) | instid1(SALU_CYCLE_2)
	v_s_rcp_f32 s14, s13
	s_add_f32 s18, s13, -1.0
	v_subrev_co_ci_u32_e64 v1, null, 0, v1, vcc_lo
	s_sub_f32 s12, s12, s18
	s_delay_alu instid0(TRANS32_DEP_1) | instskip(SKIP_1) | instid1(SALU_CYCLE_2)
	s_mul_f32 s16, s15, s14
	v_cvt_f32_i32_e32 v1, v1
	s_mul_f32 s17, s13, s16
	s_delay_alu instid0(SALU_CYCLE_3) | instskip(SKIP_1) | instid1(SALU_CYCLE_1)
	v_dual_mov_b32 v3, s15 :: v_dual_mov_b32 v4, s17
	s_xor_b32 s19, s17, 0x80000000
	s_fmac_f32 s19, s16, s13
	s_delay_alu instid0(SALU_CYCLE_3) | instskip(NEXT) | instid1(SALU_CYCLE_3)
	s_fmac_f32 s19, s16, s12
	s_add_f32 s12, s17, s19
	v_mov_b32_e32 v6, s19
	s_mov_b32 s17, 0x3e76c4e1
	s_delay_alu instid0(SALU_CYCLE_1) | instskip(SKIP_1) | instid1(SALU_CYCLE_2)
	s_sub_f32 s13, s15, s12
	v_dual_mov_b32 v2, s12 :: v_dual_mov_b32 v7, s12
	v_mov_b32_e32 v5, s13
	s_delay_alu instid0(VALU_DEP_1) | instskip(NEXT) | instid1(VALU_DEP_1)
	v_pk_add_f32 v[2:3], v[2:3], v[4:5] neg_lo:[0,1] neg_hi:[0,1]
	v_pk_add_f32 v[2:3], v[2:3], v[6:7] neg_lo:[0,1] neg_hi:[0,1]
	s_delay_alu instid0(VALU_DEP_1) | instskip(NEXT) | instid1(VALU_DEP_2)
	v_readfirstlane_b32 s12, v3
	v_readfirstlane_b32 s15, v2
	s_add_f32 s12, s15, s12
	s_delay_alu instid0(SALU_CYCLE_3) | instskip(NEXT) | instid1(SALU_CYCLE_3)
	s_add_f32 s12, s13, s12
	s_mul_f32 s13, s14, s12
	s_delay_alu instid0(SALU_CYCLE_3) | instskip(NEXT) | instid1(SALU_CYCLE_3)
	s_add_f32 s12, s16, s13
	s_sub_f32 s14, s12, s16
	s_mul_f32 s15, s12, s12
	s_delay_alu instid0(SALU_CYCLE_2) | instskip(NEXT) | instid1(SALU_CYCLE_2)
	s_sub_f32 s16, s13, s14
	s_xor_b32 s13, s15, 0x80000000
	s_delay_alu instid0(SALU_CYCLE_1) | instskip(NEXT) | instid1(SALU_CYCLE_1)
	s_fmac_f32 s13, s12, s12
	s_add_f32 s14, s16, s16
	s_delay_alu instid0(SALU_CYCLE_3) | instskip(NEXT) | instid1(SALU_CYCLE_3)
	s_fmac_f32 s13, s12, s14
	s_add_f32 s14, s15, s13
	s_delay_alu instid0(SALU_CYCLE_3) | instskip(SKIP_1) | instid1(SALU_CYCLE_2)
	s_fmaak_f32 s17, s14, s17, 0x3e91f4c4
	s_sub_f32 s15, s14, s15
	s_fmaak_f32 s17, s14, s17, 0x3ecccdef
	s_delay_alu instid0(SALU_CYCLE_2) | instskip(NEXT) | instid1(SALU_CYCLE_2)
	s_sub_f32 s23, s13, s15
	s_mul_f32 s18, s14, s17
	s_delay_alu instid0(SALU_CYCLE_3) | instskip(NEXT) | instid1(SALU_CYCLE_1)
	s_xor_b32 s19, s18, 0x80000000
	s_fmac_f32 s19, s14, s17
	s_delay_alu instid0(SALU_CYCLE_3) | instskip(NEXT) | instid1(SALU_CYCLE_3)
	s_fmac_f32 s19, s23, s17
	s_add_f32 s15, s18, s19
	s_delay_alu instid0(SALU_CYCLE_3) | instskip(SKIP_1) | instid1(SALU_CYCLE_2)
	s_sub_f32 s13, s15, s18
	s_add_f32 s17, s15, 0x3f2aaaaa
	s_sub_f32 s13, s19, s13
	s_delay_alu instid0(SALU_CYCLE_2) | instskip(NEXT) | instid1(SALU_CYCLE_2)
	s_add_f32 s18, s17, 0xbf2aaaaa
	s_add_f32 s13, s13, 0x31739010
	s_delay_alu instid0(SALU_CYCLE_2) | instskip(NEXT) | instid1(SALU_CYCLE_2)
	s_sub_f32 s15, s15, s18
	v_mov_b64_e32 v[2:3], s[12:13]
	s_delay_alu instid0(SALU_CYCLE_2) | instskip(NEXT) | instid1(VALU_DEP_1)
	v_mov_b64_e32 v[4:5], s[14:15]
	v_pk_mul_f32 v[6:7], v[2:3], v[4:5]
	v_pk_add_f32 v[2:3], v[2:3], v[4:5]
	v_mov_b32_e32 v9, s17
	s_delay_alu instid0(VALU_DEP_3) | instskip(NEXT) | instid1(VALU_DEP_3)
	v_xor_b32_e32 v8, 0x80000000, v6
	v_mov_b32_e32 v7, v3
	s_delay_alu instid0(VALU_DEP_2) | instskip(NEXT) | instid1(VALU_DEP_1)
	v_fmac_f32_e64 v8, s14, s12
	v_fmac_f32_e64 v8, s14, s16
	s_delay_alu instid0(VALU_DEP_1) | instskip(NEXT) | instid1(VALU_DEP_1)
	v_fmac_f32_e64 v8, s23, s12
	v_pk_add_f32 v[4:5], v[6:7], v[8:9]
	s_delay_alu instid0(VALU_DEP_1) | instskip(SKIP_1) | instid1(VALU_DEP_2)
	v_dual_mov_b32 v2, v5 :: v_dual_sub_f32 v7, s17, v5
	v_mul_f32_e32 v12, 0x3f317218, v1
	v_pk_mul_f32 v[10:11], v[4:5], v[2:3]
	s_delay_alu instid0(VALU_DEP_3) | instskip(NEXT) | instid1(VALU_DEP_3)
	v_add_f32_e32 v3, v3, v7
	v_xor_b32_e32 v7, 0x80000000, v12
	s_delay_alu instid0(VALU_DEP_3) | instskip(NEXT) | instid1(VALU_DEP_2)
	v_xor_b32_e32 v2, 0x80000000, v10
	v_dual_sub_f32 v6, v4, v6 :: v_dual_fmac_f32 v7, 0x3f317218, v1
	s_delay_alu instid0(VALU_DEP_2) | instskip(NEXT) | instid1(VALU_DEP_2)
	v_fmac_f32_e32 v2, v4, v5
	v_sub_f32_e32 v6, v8, v6
	s_delay_alu instid0(VALU_DEP_2) | instskip(NEXT) | instid1(VALU_DEP_1)
	v_fmac_f32_e32 v2, v4, v3
	v_fmac_f32_e32 v2, v6, v5
	v_fmamk_f32 v4, v1, 0xb102e308, v7
	v_ldexp_f32 v5, s12, 1
	v_ldexp_f32 v1, s16, 1
	s_delay_alu instid0(VALU_DEP_2) | instskip(NEXT) | instid1(VALU_DEP_1)
	v_dual_add_f32 v13, v10, v2 :: v_dual_mov_b32 v11, v5
	v_pk_add_f32 v[6:7], v[12:13], v[4:5]
	v_dual_mov_b32 v8, v13 :: v_dual_mov_b32 v3, v13
	s_delay_alu instid0(VALU_DEP_2) | instskip(SKIP_1) | instid1(VALU_DEP_2)
	v_dual_mov_b32 v9, v7 :: v_dual_mov_b32 v5, v6
	v_mov_b32_e32 v14, v7
	v_pk_add_f32 v[8:9], v[8:9], v[10:11] neg_lo:[0,1] neg_hi:[0,1]
	s_delay_alu instid0(VALU_DEP_1) | instskip(NEXT) | instid1(VALU_DEP_1)
	v_pk_add_f32 v[2:3], v[2:3], v[8:9] neg_lo:[0,1] neg_hi:[0,1]
	v_add_f32_e32 v1, v1, v2
	s_delay_alu instid0(VALU_DEP_1) | instskip(NEXT) | instid1(VALU_DEP_1)
	v_add_f32_e32 v13, v1, v3
	v_pk_add_f32 v[2:3], v[6:7], v[12:13]
	v_pk_add_f32 v[8:9], v[6:7], v[12:13] neg_lo:[0,1] neg_hi:[0,1]
	s_delay_alu instid0(VALU_DEP_2) | instskip(NEXT) | instid1(VALU_DEP_1)
	v_mov_b32_e32 v9, v3
	v_pk_add_f32 v[10:11], v[4:5], v[8:9]
	v_pk_add_f32 v[4:5], v[4:5], v[8:9] neg_lo:[0,1] neg_hi:[0,1]
	v_dual_mov_b32 v16, v3 :: v_dual_mov_b32 v5, v6
	s_delay_alu instid0(VALU_DEP_3) | instskip(NEXT) | instid1(VALU_DEP_3)
	v_dual_mov_b32 v12, v11 :: v_dual_mov_b32 v17, v11
	v_readfirstlane_b32 s12, v4
	s_delay_alu instid0(VALU_DEP_2) | instskip(NEXT) | instid1(VALU_DEP_2)
	v_pk_add_f32 v[8:9], v[12:13], v[6:7] neg_lo:[0,1] neg_hi:[0,1]
	v_dual_mov_b32 v4, v13 :: v_dual_mov_b32 v10, s12
	s_delay_alu instid0(VALU_DEP_2) | instskip(NEXT) | instid1(VALU_DEP_1)
	v_dual_mov_b32 v15, v8 :: v_dual_mov_b32 v1, v8
	v_pk_add_f32 v[6:7], v[16:17], v[14:15] neg_lo:[0,1] neg_hi:[0,1]
	s_delay_alu instid0(VALU_DEP_2) | instskip(SKIP_1) | instid1(VALU_DEP_3)
	v_pk_add_f32 v[2:3], v[2:3], v[0:1] neg_lo:[0,1] neg_hi:[0,1]
	v_mov_b32_e32 v2, s12
	v_pk_add_f32 v[4:5], v[4:5], v[6:7] neg_lo:[0,1] neg_hi:[0,1]
	s_delay_alu instid0(VALU_DEP_1) | instskip(NEXT) | instid1(VALU_DEP_1)
	v_pk_add_f32 v[2:3], v[2:3], v[4:5]
	v_readfirstlane_b32 s13, v2
	s_delay_alu instid0(VALU_DEP_2) | instskip(NEXT) | instid1(VALU_DEP_1)
	v_mov_b32_e32 v6, v3
	v_pk_add_f32 v[6:7], v[2:3], v[6:7]
	s_delay_alu instid0(VALU_DEP_3) | instskip(NEXT) | instid1(VALU_DEP_2)
	v_mov_b32_e32 v2, s13
	v_pk_add_f32 v[8:9], v[12:13], v[6:7]
	v_mov_b32_e32 v5, v6
	s_delay_alu instid0(VALU_DEP_2) | instskip(NEXT) | instid1(VALU_DEP_1)
	v_readfirstlane_b32 s14, v8
	v_mov_b32_e32 v3, s14
	s_delay_alu instid0(VALU_DEP_1) | instskip(NEXT) | instid1(VALU_DEP_1)
	v_pk_add_f32 v[2:3], v[2:3], v[10:11] neg_lo:[0,1] neg_hi:[0,1]
	v_readfirstlane_b32 s15, v2
	s_delay_alu instid0(VALU_DEP_2) | instskip(SKIP_1) | instid1(VALU_DEP_1)
	v_pk_add_f32 v[2:3], v[4:5], v[2:3] neg_lo:[0,1] neg_hi:[0,1]
	s_sub_f32 s13, s13, s15
	v_readfirstlane_b32 s15, v2
	s_delay_alu instid0(SALU_CYCLE_2) | instskip(SKIP_1) | instid1(SALU_CYCLE_2)
	s_sub_f32 s12, s12, s13
	v_readfirstlane_b32 s13, v3
	s_add_f32 s12, s15, s12
	s_delay_alu instid0(SALU_CYCLE_3) | instskip(NEXT) | instid1(SALU_CYCLE_3)
	s_add_f32 s12, s12, s13
	s_add_f32 s13, s14, s12
	s_delay_alu instid0(SALU_CYCLE_3) | instskip(SKIP_1) | instid1(SALU_CYCLE_2)
	s_mul_f32 s15, s11, s13
	s_sub_f32 s14, s13, s14
	s_xor_b32 s16, s15, 0x80000000
	s_delay_alu instid0(SALU_CYCLE_2) | instskip(SKIP_1) | instid1(SALU_CYCLE_3)
	s_sub_f32 s12, s12, s14
	s_fmac_f32 s16, s11, s13
	s_fmac_f32 s16, s11, s12
	v_cmp_class_f32_e64 s12, s15, 0x204
	s_delay_alu instid0(SALU_CYCLE_2) | instskip(SKIP_1) | instid1(SALU_CYCLE_2)
	s_add_f32 s13, s15, s16
	s_and_b32 s12, s12, exec_lo
	s_sub_f32 s12, s13, s15
	s_cselect_b32 s13, s15, s13
	s_delay_alu instid0(SALU_CYCLE_1) | instskip(NEXT) | instid1(SALU_CYCLE_1)
	s_and_b32 s14, s13, 0x7fffffff
	s_sub_f32 s12, s16, s12
	s_cmp_neq_f32 s14, 0x7f800000
	s_delay_alu instid0(SALU_CYCLE_2) | instskip(SKIP_2) | instid1(SALU_CYCLE_1)
	s_cselect_b32 s12, s12, 0
	s_cmp_eq_f32 s13, 0x42b17218
	s_cselect_b32 s14, 0x37000000, 0
	s_sub_f32 s13, s13, s14
	s_add_f32 s12, s14, s12
	s_delay_alu instid0(SALU_CYCLE_2) | instskip(NEXT) | instid1(SALU_CYCLE_3)
	s_mul_f32 s15, s13, 0x3fb8aa3b
	s_xor_b32 s16, s15, 0x80000000
	s_rndne_f32 s17, s15
	s_fmamk_f32 s16, s13, 0x3fb8aa3b, s16
	s_cmp_nlt_f32 s13, 0xc2ce8ed0
	s_delay_alu instid0(SALU_CYCLE_1) | instskip(NEXT) | instid1(SALU_CYCLE_1)
	s_sub_f32 s15, s15, s17
	s_fmamk_f32 s16, s13, 0x32a5705f, s16
	s_cselect_b32 vcc_lo, -1, 0
	s_cmp_ngt_f32 s13, 0x42b17218
	s_trunc_f32 s13, s11
	s_add_f32 s15, s15, s16
	s_cvt_i32_f32 s16, s17
	s_delay_alu instid0(SALU_CYCLE_2)
	v_s_exp_f32 s15, s15
	v_nop
	s_delay_alu instid0(TRANS32_DEP_1) | instid1(SALU_CYCLE_1)
	v_ldexp_f32 v1, s15, s16
	s_mul_f32 s15, s11, 0.5
	s_delay_alu instid0(VALU_DEP_1) | instskip(SKIP_3) | instid1(VALU_DEP_1)
	v_cndmask_b32_e32 v1, 0, v1, vcc_lo
	s_cselect_b32 vcc_lo, -1, 0
	s_cmp_eq_f32 s13, s11
	s_trunc_f32 s16, s15
	v_cndmask_b32_e32 v1, 0x7f800000, v1, vcc_lo
	s_cselect_b32 s17, -1, 0
	s_delay_alu instid0(SALU_CYCLE_1) | instskip(NEXT) | instid1(VALU_DEP_1)
	s_cmp_neq_f32 s16, s15
	v_fma_f32 v2, s12, v1, v1
	v_cmp_class_f32_e64 vcc_lo, v1, 0x204
	s_cselect_b32 s14, -1, 0
	s_delay_alu instid0(SALU_CYCLE_1)
	s_and_b32 s12, s17, s14
	v_cndmask_b32_e32 v1, v2, v1, vcc_lo
	s_and_b32 s14, s12, exec_lo
	s_cselect_b32 s14, s3, 1.0
	s_cmp_eq_f32 s13, s11
	v_cmp_class_f32_e64 s13, s3, 0x204
	v_bfi_b32 v1, 0x7fffffff, v1, s14
	s_cselect_b32 vcc_lo, -1, 0
	s_cmp_lt_f32 s3, 0
	s_delay_alu instid0(VALU_DEP_1) | instskip(SKIP_2) | instid1(VALU_DEP_1)
	v_cndmask_b32_e32 v2, 0x7fc00000, v1, vcc_lo
	s_cselect_b32 vcc_lo, -1, 0
	s_cmp_eq_f32 s3, 0
	v_cndmask_b32_e32 v1, v1, v2, vcc_lo
	s_cselect_b32 s14, -1, 0
	s_delay_alu instid0(SALU_CYCLE_1) | instskip(SKIP_2) | instid1(SALU_CYCLE_1)
	s_or_b32 vcc_lo, s14, s13
	s_cmp_lt_f32 s11, 0
	s_cselect_b32 s11, -1, 0
	s_xor_b32 s11, s11, s14
	s_delay_alu instid0(SALU_CYCLE_1)
	s_and_b32 s11, s11, exec_lo
	s_cselect_b32 s11, 0, 0x7f800000
	s_and_b32 s12, s12, exec_lo
	s_cselect_b32 s12, s3, 0
	s_cmp_o_f32 s3, s3
	v_mov_b32_e32 v2, s12
	s_delay_alu instid0(VALU_DEP_1) | instskip(NEXT) | instid1(VALU_DEP_1)
	v_bfi_b32 v2, 0x7fffffff, s11, v2
	v_cndmask_b32_e32 v1, v1, v2, vcc_lo
	s_cselect_b32 vcc_lo, -1, 0
	s_delay_alu instid0(VALU_DEP_1)
	v_cndmask_b32_e32 v6, 0x7fc00000, v1, vcc_lo
.LBB14_8:
	s_load_b256 s[12:19], s[0:1], 0x0
	s_wait_kmcnt 0x0
	s_cmp_lg_u64 s[16:17], 0
	s_cselect_b32 s3, -1, 0
	s_cmp_eq_u64 s[16:17], 0
	s_cbranch_scc1 .LBB14_12
; %bb.9:
	s_load_b32 s11, s[16:17], s2 offset:0x0 scale_offset
	s_branch .LBB14_13
.LBB14_10:
                                        ; implicit-def: $sgpr20_sgpr21
	s_branch .LBB14_2
.LBB14_11:
                                        ; implicit-def: $sgpr24_sgpr25
	s_branch .LBB14_5
.LBB14_12:
	s_mov_b32 s11, 0xff800000
.LBB14_13:
	s_bfe_u32 s0, ttmp6, 0x4000c
	s_and_b32 s1, ttmp6, 15
	s_add_co_i32 s0, s0, 1
	s_mul_i32 s22, s27, s22
	s_mul_i32 s0, ttmp9, s0
	v_dual_mov_b32 v3, 0 :: v_dual_lshlrev_b32 v2, 2, v0
	s_add_co_i32 s1, s1, s0
	s_cmp_eq_u32 s28, 0
	s_cselect_b32 s0, ttmp9, s1
	s_add_co_i32 s1, s22, s2
	s_delay_alu instid0(SALU_CYCLE_1) | instskip(NEXT) | instid1(SALU_CYCLE_1)
	s_mul_i32 s1, s1, s26
	s_add_co_i32 s22, s1, s0
	s_mov_b32 s1, 0
	s_ashr_i32 s23, s22, 31
	s_mul_u64 s[0:1], s[4:5], s[0:1]
	s_lshl_b64 s[26:27], s[22:23], 14
	s_mul_u64 s[4:5], s[20:21], s[6:7]
	s_add_nc_u64 s[12:13], s[12:13], s[26:27]
	s_add_nc_u64 s[0:1], s[4:5], s[0:1]
	global_load_b32 v1, v0, s[12:13] scale_offset
	s_mul_u64 s[4:5], s[24:25], s[8:9]
	v_add_nc_u64_e32 v[4:5], s[12:13], v[2:3]
	s_add_nc_u64 s[0:1], s[0:1], s[4:5]
	v_mov_b32_e32 v2, 0
	s_lshr_b64 s[0:1], s[0:1], 2
	s_cmp_lg_u64 s[14:15], 0
	s_cselect_b32 s4, -1, 0
	s_delay_alu instid0(SALU_CYCLE_1) | instskip(SKIP_2) | instid1(SALU_CYCLE_1)
	s_and_b32 vcc_lo, s4, exec_lo
	s_cselect_b32 s1, s1, 0
	s_cselect_b32 s0, s0, 0
	s_lshl_b64 s[0:1], s[0:1], 2
	s_delay_alu instid0(SALU_CYCLE_1)
	s_add_nc_u64 s[0:1], s[14:15], s[0:1]
	s_cbranch_vccz .LBB14_15
; %bb.14:
	global_load_b32 v2, v0, s[0:1] scale_offset
	s_wait_loadcnt 0x0
	v_mul_f32_e32 v2, v6, v2
.LBB14_15:
	global_load_b32 v8, v[4:5], off offset:4096
	v_cndmask_b32_e64 v7, 0, 1, s4
	s_wait_loadcnt 0x1
	v_fmac_f32_e32 v2, s10, v1
	v_lshl_add_u32 v1, v0, 2, 0
	s_and_not1_b32 vcc_lo, exec_lo, s4
	ds_store_b32 v1, v2 offset:128
	s_cbranch_vccnz .LBB14_17
; %bb.16:
	global_load_b32 v3, v0, s[0:1] offset:4096 scale_offset
	s_wait_loadcnt 0x0
	v_mul_f32_e32 v3, v6, v3
.LBB14_17:
	global_load_b32 v10, v[4:5], off offset:8192
	v_cmp_ne_u32_e32 vcc_lo, 1, v7
	s_wait_loadcnt 0x1
	v_dual_fmac_f32 v3, s10, v8 :: v_dual_mov_b32 v8, 0
	v_mov_b32_e32 v9, 0
	ds_store_b32 v1, v3 offset:4224
	s_cbranch_vccnz .LBB14_19
; %bb.18:
	global_load_b32 v9, v0, s[0:1] offset:8192 scale_offset
	s_wait_loadcnt 0x0
	v_mul_f32_e32 v9, v6, v9
.LBB14_19:
	global_load_b32 v4, v[4:5], off offset:12288
	v_cmp_ne_u32_e32 vcc_lo, 1, v7
	s_wait_loadcnt 0x1
	v_fmac_f32_e32 v9, s10, v10
	ds_store_b32 v1, v9 offset:8320
	s_cbranch_vccnz .LBB14_21
; %bb.20:
	global_load_b32 v5, v0, s[0:1] offset:12288 scale_offset
	s_wait_loadcnt 0x0
	v_mul_f32_e32 v8, v6, v5
.LBB14_21:
	v_mbcnt_lo_u32_b32 v6, -1, 0
	s_wait_kmcnt 0x0
	v_max3_num_f32 v2, s11, v2, v3
	s_wait_loadcnt 0x0
	s_delay_alu instid0(VALU_DEP_2) | instskip(NEXT) | instid1(VALU_DEP_1)
	v_dual_fmac_f32 v8, s10, v4 :: v_dual_bitop2_b32 v5, 16, v6 bitop3:0x14
	v_max3_num_f32 v4, v2, v9, v8
	ds_store_b32 v1, v8 offset:12416
	v_cmp_gt_i32_e32 vcc_lo, 32, v5
	v_dual_cndmask_b32 v3, v6, v5, vcc_lo :: v_dual_bitop2_b32 v5, 8, v6 bitop3:0x14
	s_delay_alu instid0(VALU_DEP_1) | instskip(NEXT) | instid1(VALU_DEP_2)
	v_cmp_gt_i32_e32 vcc_lo, 32, v5
	v_dual_cndmask_b32 v5, v6, v5 :: v_dual_lshlrev_b32 v2, 2, v3
	ds_bpermute_b32 v3, v2, v4
	s_wait_dscnt 0x0
	v_dual_max_num_f32 v7, v3, v3 :: v_dual_lshlrev_b32 v3, 2, v5
	s_delay_alu instid0(VALU_DEP_1) | instskip(SKIP_4) | instid1(VALU_DEP_1)
	v_dual_max_num_f32 v5, v4, v7 :: v_dual_bitop2_b32 v7, 4, v6 bitop3:0x14
	ds_bpermute_b32 v4, v3, v5
	v_cmp_gt_i32_e32 vcc_lo, 32, v7
	s_wait_dscnt 0x0
	v_dual_cndmask_b32 v7, v6, v7, vcc_lo :: v_dual_max_num_f32 v9, v4, v4
	v_dual_max_num_f32 v7, v5, v9 :: v_dual_lshlrev_b32 v4, 2, v7
	ds_bpermute_b32 v5, v4, v7
	s_wait_dscnt 0x0
	v_dual_max_num_f32 v10, v5, v5 :: v_dual_bitop2_b32 v9, 2, v6 bitop3:0x14
	s_delay_alu instid0(VALU_DEP_1) | instskip(NEXT) | instid1(VALU_DEP_2)
	v_cmp_gt_i32_e32 vcc_lo, 32, v9
	v_dual_max_num_f32 v7, v7, v10 :: v_dual_cndmask_b32 v9, v6, v9, vcc_lo
	s_delay_alu instid0(VALU_DEP_1) | instskip(NEXT) | instid1(VALU_DEP_1)
	v_dual_lshlrev_b32 v5, 2, v9 :: v_dual_bitop2_b32 v10, 1, v6 bitop3:0x14
	v_cmp_gt_i32_e32 vcc_lo, 32, v10
	ds_bpermute_b32 v9, v5, v7
	v_cndmask_b32_e32 v6, v6, v10, vcc_lo
	s_wait_dscnt 0x0
	s_delay_alu instid0(VALU_DEP_1) | instskip(NEXT) | instid1(VALU_DEP_1)
	v_dual_max_num_f32 v9, v9, v9 :: v_dual_lshlrev_b32 v6, 2, v6
	v_dual_max_num_f32 v10, v7, v9 :: v_dual_bitop2_b32 v9, 31, v0 bitop3:0x40
	v_lshrrev_b32_e32 v7, 3, v0
	ds_bpermute_b32 v11, v6, v10
	v_cmp_eq_u32_e32 vcc_lo, 0, v9
	s_and_saveexec_b32 s0, vcc_lo
	s_delay_alu instid0(SALU_CYCLE_1)
	s_xor_b32 s0, exec_lo, s0
	s_cbranch_execz .LBB14_23
; %bb.22:
	s_wait_dscnt 0x0
	v_dual_max_num_f32 v8, v11, v11 :: v_dual_max_num_f32 v10, v10, v10
	s_delay_alu instid0(VALU_DEP_1)
	v_dual_max_num_f32 v8, v10, v8 :: v_dual_add_nc_u32 v10, 0, v7
	ds_store_b32 v10, v8
.LBB14_23:
	s_or_b32 exec_lo, exec_lo, s0
	v_lshl_add_u32 v8, v9, 2, 0
	s_wait_dscnt 0x0
	s_barrier_signal -1
	s_barrier_wait -1
	ds_load_b32 v9, v8
	s_wait_dscnt 0x0
	ds_bpermute_b32 v10, v2, v9
	s_wait_dscnt 0x0
	v_dual_max_num_f32 v9, v9, v9 :: v_dual_max_num_f32 v10, v10, v10
	s_delay_alu instid0(VALU_DEP_1) | instskip(SKIP_3) | instid1(VALU_DEP_1)
	v_max_num_f32_e32 v9, v9, v10
	ds_bpermute_b32 v10, v3, v9
	s_wait_dscnt 0x0
	v_max_num_f32_e32 v10, v10, v10
	v_max_num_f32_e32 v9, v9, v10
	ds_bpermute_b32 v10, v4, v9
	s_wait_dscnt 0x0
	v_max_num_f32_e32 v10, v10, v10
	s_delay_alu instid0(VALU_DEP_1) | instskip(SKIP_3) | instid1(VALU_DEP_1)
	v_max_num_f32_e32 v9, v9, v10
	ds_bpermute_b32 v10, v5, v9
	s_wait_dscnt 0x0
	v_max_num_f32_e32 v10, v10, v10
	v_max_num_f32_e32 v9, v9, v10
	ds_bpermute_b32 v14, v6, v9
	s_wait_dscnt 0x0
	v_dual_max_num_f32 v14, v14, v14 :: v_dual_add_nc_u32 v15, 0x80, v1
	ds_load_2addr_stride64_b32 v[10:11], v15 offset1:16
	ds_load_2addr_stride64_b32 v[12:13], v15 offset0:32 offset1:48
	v_max_num_f32_e32 v9, v9, v14
	s_wait_dscnt 0x1
	s_delay_alu instid0(VALU_DEP_1) | instskip(NEXT) | instid1(VALU_DEP_1)
	v_sub_f32_e32 v11, v11, v9
	v_mul_f32_e32 v16, 0x3fb8aa3b, v11
	s_wait_dscnt 0x0
	v_dual_sub_f32 v10, v10, v9 :: v_dual_sub_f32 v12, v12, v9
	v_sub_f32_e32 v13, v13, v9
	s_delay_alu instid0(VALU_DEP_3) | instskip(NEXT) | instid1(VALU_DEP_3)
	v_fma_f32 v21, 0x3fb8aa3b, v11, -v16
	v_dual_mul_f32 v14, 0x3fb8aa3b, v10 :: v_dual_mul_f32 v17, 0x3fb8aa3b, v12
	s_delay_alu instid0(VALU_DEP_3) | instskip(SKIP_1) | instid1(VALU_DEP_4)
	v_mul_f32_e32 v18, 0x3fb8aa3b, v13
	v_rndne_f32_e32 v22, v16
	v_fmac_f32_e32 v21, 0x32a5705f, v11
	s_delay_alu instid0(VALU_DEP_4) | instskip(SKIP_4) | instid1(VALU_DEP_4)
	v_fma_f32 v19, 0x3fb8aa3b, v10, -v14
	v_rndne_f32_e32 v20, v14
	v_fma_f32 v23, 0x3fb8aa3b, v12, -v17
	v_rndne_f32_e32 v24, v17
	v_rndne_f32_e32 v26, v18
	v_dual_fmac_f32 v19, 0x32a5705f, v10 :: v_dual_sub_f32 v14, v14, v20
	s_delay_alu instid0(VALU_DEP_4) | instskip(SKIP_1) | instid1(VALU_DEP_4)
	v_dual_sub_f32 v16, v16, v22 :: v_dual_fmac_f32 v23, 0x32a5705f, v12
	v_fma_f32 v25, 0x3fb8aa3b, v13, -v18
	v_dual_sub_f32 v17, v17, v24 :: v_dual_sub_f32 v18, v18, v26
	s_delay_alu instid0(VALU_DEP_3) | instskip(SKIP_1) | instid1(VALU_DEP_3)
	v_dual_add_f32 v14, v14, v19 :: v_dual_add_f32 v16, v16, v21
	v_cvt_i32_f32_e32 v19, v20
	v_add_f32_e32 v17, v17, v23
	v_cvt_i32_f32_e32 v20, v22
	s_delay_alu instid0(VALU_DEP_4)
	v_exp_f32_e32 v14, v14
	v_exp_f32_e32 v16, v16
	v_cmp_ngt_f32_e64 s0, 0xc2ce8ed0, v10
	v_exp_f32_e32 v17, v17
	v_cvt_i32_f32_e32 v21, v24
	v_cvt_i32_f32_e32 v22, v26
	s_delay_alu instid0(TRANS32_DEP_3) | instskip(NEXT) | instid1(TRANS32_DEP_2)
	v_ldexp_f32 v14, v14, v19
	v_ldexp_f32 v16, v16, v20
	s_delay_alu instid0(TRANS32_DEP_1) | instid1(VALU_DEP_4)
	v_ldexp_f32 v17, v17, v21
	s_delay_alu instid0(VALU_DEP_3) | instskip(SKIP_1) | instid1(VALU_DEP_1)
	v_cndmask_b32_e64 v14, 0, v14, s0
	v_cmp_ngt_f32_e64 s0, 0xc2ce8ed0, v11
	v_cndmask_b32_e64 v16, 0, v16, s0
	v_cmp_ngt_f32_e64 s0, 0xc2ce8ed0, v12
	s_delay_alu instid0(VALU_DEP_1) | instskip(SKIP_1) | instid1(VALU_DEP_1)
	v_cndmask_b32_e64 v17, 0, v17, s0
	v_cmp_nlt_f32_e64 s0, 0x42b17218, v10
	v_cndmask_b32_e64 v14, 0x7f800000, v14, s0
	v_cmp_nlt_f32_e64 s0, 0x42b17218, v11
	s_delay_alu instid0(VALU_DEP_1) | instskip(SKIP_1) | instid1(VALU_DEP_2)
	v_cndmask_b32_e64 v16, 0x7f800000, v16, s0
	v_cmp_nlt_f32_e64 s0, 0x42b17218, v12
	v_add_f32_e32 v11, v14, v16
	s_delay_alu instid0(VALU_DEP_2) | instskip(SKIP_1) | instid1(VALU_DEP_2)
	v_cndmask_b32_e64 v12, 0x7f800000, v17, s0
	v_cmp_ngt_f32_e64 s0, 0xc2ce8ed0, v13
	v_add_f32_e32 v11, v11, v12
	v_fmac_f32_e32 v25, 0x32a5705f, v13
	s_delay_alu instid0(VALU_DEP_1) | instskip(NEXT) | instid1(VALU_DEP_1)
	v_add_f32_e32 v18, v18, v25
	v_exp_f32_e32 v18, v18
	v_nop
	s_delay_alu instid0(TRANS32_DEP_1) | instskip(NEXT) | instid1(VALU_DEP_1)
	v_ldexp_f32 v10, v18, v22
	v_cndmask_b32_e64 v10, 0, v10, s0
	v_cmp_nlt_f32_e64 s0, 0x42b17218, v13
	s_delay_alu instid0(VALU_DEP_1)
	v_cndmask_b32_e64 v13, 0x7f800000, v10, s0
	ds_store_2addr_stride64_b32 v15, v14, v16 offset1:16
	ds_store_2addr_stride64_b32 v15, v12, v13 offset0:32 offset1:48
	v_add_f32_e32 v10, v11, v13
	ds_bpermute_b32 v11, v2, v10
	s_wait_dscnt 0x0
	v_add_f32_e32 v10, v10, v11
	ds_bpermute_b32 v11, v3, v10
	s_wait_dscnt 0x0
	;; [unrolled: 3-line block ×4, first 2 shown]
	v_add_f32_e32 v10, v10, v11
	ds_bpermute_b32 v11, v6, v10
	s_and_saveexec_b32 s0, vcc_lo
	s_cbranch_execz .LBB14_25
; %bb.24:
	s_wait_dscnt 0x0
	v_add_f32_e32 v10, v10, v11
	v_add_nc_u32_e32 v7, 0, v7
	ds_store_b32 v7, v10
.LBB14_25:
	s_or_b32 exec_lo, exec_lo, s0
	s_wait_dscnt 0x0
	s_barrier_signal -1
	s_barrier_wait -1
	ds_load_b32 v7, v8
	s_and_not1_b32 vcc_lo, exec_lo, s3
	s_lshl_b64 s[0:1], s[22:23], 12
	s_wait_dscnt 0x0
	ds_bpermute_b32 v2, v2, v7
	s_wait_dscnt 0x0
	v_add_f32_e32 v2, v7, v2
	ds_bpermute_b32 v3, v3, v2
	s_wait_dscnt 0x0
	v_add_f32_e32 v2, v2, v3
	;; [unrolled: 3-line block ×5, first 2 shown]
	s_cbranch_vccnz .LBB14_27
; %bb.26:
	s_load_b32 s2, s[16:17], s2 offset:0x0 scale_offset
	s_wait_kmcnt 0x0
	v_sub_f32_e32 v3, s2, v9
	s_delay_alu instid0(VALU_DEP_1) | instskip(NEXT) | instid1(VALU_DEP_1)
	v_mul_f32_e32 v4, 0x3fb8aa3b, v3
	v_fma_f32 v5, 0x3fb8aa3b, v3, -v4
	v_rndne_f32_e32 v6, v4
	s_delay_alu instid0(VALU_DEP_1) | instskip(SKIP_1) | instid1(VALU_DEP_4)
	v_sub_f32_e32 v4, v4, v6
	v_cmp_ngt_f32_e32 vcc_lo, 0xc2ce8ed0, v3
	v_fmamk_f32 v5, v3, 0x32a5705f, v5
	s_delay_alu instid0(VALU_DEP_1) | instskip(SKIP_1) | instid1(VALU_DEP_2)
	v_add_f32_e32 v4, v4, v5
	v_cvt_i32_f32_e32 v5, v6
	v_exp_f32_e32 v4, v4
	v_nop
	s_delay_alu instid0(TRANS32_DEP_1) | instskip(NEXT) | instid1(VALU_DEP_1)
	v_ldexp_f32 v4, v4, v5
	v_cndmask_b32_e32 v4, 0, v4, vcc_lo
	v_cmp_nlt_f32_e32 vcc_lo, 0x42b17218, v3
	s_delay_alu instid0(VALU_DEP_2) | instskip(NEXT) | instid1(VALU_DEP_1)
	v_cndmask_b32_e32 v3, 0x7f800000, v4, vcc_lo
	v_add_f32_e32 v2, v2, v3
.LBB14_27:
	s_delay_alu instid0(VALU_DEP_1)
	v_div_scale_f32 v3, null, v2, v2, 1.0
	v_div_scale_f32 v9, vcc_lo, 1.0, v2, 1.0
	s_lshl_b64 s[0:1], s[0:1], 2
	v_rcp_f32_e32 v8, v3
	s_add_nc_u64 s[0:1], s[18:19], s[0:1]
	v_add_nc_u32_e32 v1, 0x80, v1
	s_delay_alu instid0(TRANS32_DEP_1) | instskip(NEXT) | instid1(VALU_DEP_1)
	v_fma_f32 v4, -v3, v8, 1.0
	v_fmac_f32_e32 v8, v4, v8
	ds_load_2addr_stride64_b32 v[4:5], v1 offset1:16
	v_mul_f32_e32 v10, v9, v8
	s_delay_alu instid0(VALU_DEP_1) | instskip(NEXT) | instid1(VALU_DEP_1)
	v_fma_f32 v6, -v3, v10, v9
	v_fmac_f32_e32 v10, v6, v8
	ds_load_2addr_stride64_b32 v[6:7], v1 offset0:32 offset1:48
	v_fma_f32 v1, -v3, v10, v9
	s_delay_alu instid0(VALU_DEP_1) | instskip(NEXT) | instid1(VALU_DEP_1)
	v_div_fmas_f32 v1, v1, v8, v10
	v_div_fixup_f32 v1, v1, v2, 1.0
	s_wait_dscnt 0x0
	s_delay_alu instid0(VALU_DEP_1)
	v_dual_mul_f32 v2, v1, v4 :: v_dual_mul_f32 v4, v1, v6
	v_dual_mul_f32 v3, v1, v5 :: v_dual_mul_f32 v1, v1, v7
	s_clause 0x3
	global_store_b32 v0, v2, s[0:1] scale_offset
	global_store_b32 v0, v3, s[0:1] offset:4096 scale_offset
	global_store_b32 v0, v4, s[0:1] offset:8192 scale_offset
	;; [unrolled: 1-line block ×3, first 2 shown]
	s_endpgm
	.section	.rodata,"a",@progbits
	.p2align	6, 0x0
	.amdhsa_kernel _ZL12soft_max_f32ILb1ELi4096ELi1024EfEvPKfPKT2_S1_Pf15soft_max_params
		.amdhsa_group_segment_fixed_size 0
		.amdhsa_private_segment_fixed_size 0
		.amdhsa_kernarg_size 416
		.amdhsa_user_sgpr_count 2
		.amdhsa_user_sgpr_dispatch_ptr 0
		.amdhsa_user_sgpr_queue_ptr 0
		.amdhsa_user_sgpr_kernarg_segment_ptr 1
		.amdhsa_user_sgpr_dispatch_id 0
		.amdhsa_user_sgpr_kernarg_preload_length 0
		.amdhsa_user_sgpr_kernarg_preload_offset 0
		.amdhsa_user_sgpr_private_segment_size 0
		.amdhsa_wavefront_size32 1
		.amdhsa_uses_dynamic_stack 0
		.amdhsa_enable_private_segment 0
		.amdhsa_system_sgpr_workgroup_id_x 1
		.amdhsa_system_sgpr_workgroup_id_y 1
		.amdhsa_system_sgpr_workgroup_id_z 1
		.amdhsa_system_sgpr_workgroup_info 0
		.amdhsa_system_vgpr_workitem_id 0
		.amdhsa_next_free_vgpr 27
		.amdhsa_next_free_sgpr 36
		.amdhsa_named_barrier_count 0
		.amdhsa_reserve_vcc 1
		.amdhsa_float_round_mode_32 0
		.amdhsa_float_round_mode_16_64 0
		.amdhsa_float_denorm_mode_32 3
		.amdhsa_float_denorm_mode_16_64 3
		.amdhsa_fp16_overflow 0
		.amdhsa_memory_ordered 1
		.amdhsa_forward_progress 1
		.amdhsa_inst_pref_size 40
		.amdhsa_round_robin_scheduling 0
		.amdhsa_exception_fp_ieee_invalid_op 0
		.amdhsa_exception_fp_denorm_src 0
		.amdhsa_exception_fp_ieee_div_zero 0
		.amdhsa_exception_fp_ieee_overflow 0
		.amdhsa_exception_fp_ieee_underflow 0
		.amdhsa_exception_fp_ieee_inexact 0
		.amdhsa_exception_int_div_zero 0
	.end_amdhsa_kernel
	.section	.text._ZL12soft_max_f32ILb1ELi4096ELi1024EfEvPKfPKT2_S1_Pf15soft_max_params,"axG",@progbits,_ZL12soft_max_f32ILb1ELi4096ELi1024EfEvPKfPKT2_S1_Pf15soft_max_params,comdat
.Lfunc_end14:
	.size	_ZL12soft_max_f32ILb1ELi4096ELi1024EfEvPKfPKT2_S1_Pf15soft_max_params, .Lfunc_end14-_ZL12soft_max_f32ILb1ELi4096ELi1024EfEvPKfPKT2_S1_Pf15soft_max_params
                                        ; -- End function
	.set _ZL12soft_max_f32ILb1ELi4096ELi1024EfEvPKfPKT2_S1_Pf15soft_max_params.num_vgpr, 27
	.set _ZL12soft_max_f32ILb1ELi4096ELi1024EfEvPKfPKT2_S1_Pf15soft_max_params.num_agpr, 0
	.set _ZL12soft_max_f32ILb1ELi4096ELi1024EfEvPKfPKT2_S1_Pf15soft_max_params.numbered_sgpr, 36
	.set _ZL12soft_max_f32ILb1ELi4096ELi1024EfEvPKfPKT2_S1_Pf15soft_max_params.num_named_barrier, 0
	.set _ZL12soft_max_f32ILb1ELi4096ELi1024EfEvPKfPKT2_S1_Pf15soft_max_params.private_seg_size, 0
	.set _ZL12soft_max_f32ILb1ELi4096ELi1024EfEvPKfPKT2_S1_Pf15soft_max_params.uses_vcc, 1
	.set _ZL12soft_max_f32ILb1ELi4096ELi1024EfEvPKfPKT2_S1_Pf15soft_max_params.uses_flat_scratch, 0
	.set _ZL12soft_max_f32ILb1ELi4096ELi1024EfEvPKfPKT2_S1_Pf15soft_max_params.has_dyn_sized_stack, 0
	.set _ZL12soft_max_f32ILb1ELi4096ELi1024EfEvPKfPKT2_S1_Pf15soft_max_params.has_recursion, 0
	.set _ZL12soft_max_f32ILb1ELi4096ELi1024EfEvPKfPKT2_S1_Pf15soft_max_params.has_indirect_call, 0
	.section	.AMDGPU.csdata,"",@progbits
; Kernel info:
; codeLenInByte = 5008
; TotalNumSgprs: 38
; NumVgprs: 27
; ScratchSize: 0
; MemoryBound: 0
; FloatMode: 240
; IeeeMode: 1
; LDSByteSize: 0 bytes/workgroup (compile time only)
; SGPRBlocks: 0
; VGPRBlocks: 1
; NumSGPRsForWavesPerEU: 38
; NumVGPRsForWavesPerEU: 27
; NamedBarCnt: 0
; Occupancy: 16
; WaveLimiterHint : 1
; COMPUTE_PGM_RSRC2:SCRATCH_EN: 0
; COMPUTE_PGM_RSRC2:USER_SGPR: 2
; COMPUTE_PGM_RSRC2:TRAP_HANDLER: 0
; COMPUTE_PGM_RSRC2:TGID_X_EN: 1
; COMPUTE_PGM_RSRC2:TGID_Y_EN: 1
; COMPUTE_PGM_RSRC2:TGID_Z_EN: 1
; COMPUTE_PGM_RSRC2:TIDIG_COMP_CNT: 0
	.section	.text._ZL12soft_max_f32ILb1ELi2048ELi1024EfEvPKfPKT2_S1_Pf15soft_max_params,"axG",@progbits,_ZL12soft_max_f32ILb1ELi2048ELi1024EfEvPKfPKT2_S1_Pf15soft_max_params,comdat
	.globl	_ZL12soft_max_f32ILb1ELi2048ELi1024EfEvPKfPKT2_S1_Pf15soft_max_params ; -- Begin function _ZL12soft_max_f32ILb1ELi2048ELi1024EfEvPKfPKT2_S1_Pf15soft_max_params
	.p2align	8
	.type	_ZL12soft_max_f32ILb1ELi2048ELi1024EfEvPKfPKT2_S1_Pf15soft_max_params,@function
_ZL12soft_max_f32ILb1ELi2048ELi1024EfEvPKfPKT2_S1_Pf15soft_max_params: ; @_ZL12soft_max_f32ILb1ELi2048ELi1024EfEvPKfPKT2_S1_Pf15soft_max_params
; %bb.0:
	s_clause 0x1
	s_load_b256 s[4:11], s[0:1], 0x68
	s_load_b64 s[12:13], s[0:1], 0x88
	s_bfe_u32 s2, ttmp6, 0x40010
	s_and_b32 s3, ttmp7, 0xffff
	s_add_co_i32 s2, s2, 1
	s_bfe_u32 s14, ttmp6, 0x40004
	s_mul_i32 s2, s3, s2
	s_getreg_b32 s28, hwreg(HW_REG_IB_STS2, 6, 4)
	s_add_co_i32 s14, s14, s2
	s_cmp_eq_u32 s28, 0
	s_cselect_b32 s2, s3, s14
	s_mov_b32 s3, 0
	s_wait_kmcnt 0x0
	s_and_b64 s[14:15], s[10:11], 0xffffffff00000000
	s_delay_alu instid0(SALU_CYCLE_1)
	s_cmp_lg_u64 s[14:15], 0
	s_cbranch_scc0 .LBB15_10
; %bb.1:
	s_ashr_i32 s14, s11, 31
	s_mov_b32 s21, s3
	s_mov_b32 s15, s14
	;; [unrolled: 1-line block ×3, first 2 shown]
	s_add_nc_u64 s[16:17], s[10:11], s[14:15]
	s_delay_alu instid0(SALU_CYCLE_1) | instskip(NEXT) | instid1(SALU_CYCLE_1)
	s_xor_b64 s[14:15], s[16:17], s[14:15]
	s_cvt_f32_u32 s11, s14
	s_cvt_f32_u32 s16, s15
	s_sub_nc_u64 s[18:19], 0, s[14:15]
	s_delay_alu instid0(SALU_CYCLE_2) | instskip(NEXT) | instid1(SALU_CYCLE_3)
	s_fmamk_f32 s11, s16, 0x4f800000, s11
	v_s_rcp_f32 s11, s11
	s_delay_alu instid0(TRANS32_DEP_1) | instskip(NEXT) | instid1(SALU_CYCLE_3)
	s_mul_f32 s11, s11, 0x5f7ffffc
	s_mul_f32 s16, s11, 0x2f800000
	s_delay_alu instid0(SALU_CYCLE_3) | instskip(NEXT) | instid1(SALU_CYCLE_3)
	s_trunc_f32 s16, s16
	s_fmamk_f32 s11, s16, 0xcf800000, s11
	s_cvt_u32_f32 s17, s16
	s_delay_alu instid0(SALU_CYCLE_2) | instskip(NEXT) | instid1(SALU_CYCLE_3)
	s_cvt_u32_f32 s16, s11
	s_mul_u64 s[22:23], s[18:19], s[16:17]
	s_delay_alu instid0(SALU_CYCLE_1)
	s_mul_hi_u32 s27, s16, s23
	s_mul_i32 s26, s16, s23
	s_mul_hi_u32 s20, s16, s22
	s_mul_i32 s24, s17, s22
	s_add_nc_u64 s[20:21], s[20:21], s[26:27]
	s_mul_hi_u32 s11, s17, s22
	s_mul_hi_u32 s29, s17, s23
	s_add_co_u32 s20, s20, s24
	s_add_co_ci_u32 s24, s21, s11
	s_mul_i32 s22, s17, s23
	s_add_co_ci_u32 s23, s29, 0
	s_delay_alu instid0(SALU_CYCLE_1) | instskip(SKIP_3) | instid1(SALU_CYCLE_1)
	s_add_nc_u64 s[20:21], s[24:25], s[22:23]
	s_mov_b32 s23, s3
	s_add_co_u32 s16, s16, s20
	s_cselect_b32 s11, -1, 0
	s_cmp_lg_u32 s11, 0
	s_add_co_ci_u32 s17, s17, s21
	s_mov_b32 s21, s3
	s_mul_u64 s[18:19], s[18:19], s[16:17]
	s_delay_alu instid0(SALU_CYCLE_1)
	s_mul_hi_u32 s25, s16, s19
	s_mul_i32 s24, s16, s19
	s_mul_hi_u32 s20, s16, s18
	s_mul_i32 s22, s17, s18
	s_add_nc_u64 s[20:21], s[20:21], s[24:25]
	s_mul_hi_u32 s11, s17, s18
	s_mul_hi_u32 s26, s17, s19
	s_mul_i32 s18, s17, s19
	s_add_co_u32 s19, s20, s22
	s_add_co_ci_u32 s22, s21, s11
	s_add_co_ci_u32 s19, s26, 0
	s_add_nc_u64 s[20:21], s[2:3], 0
	s_add_nc_u64 s[18:19], s[22:23], s[18:19]
	s_delay_alu instid0(SALU_CYCLE_1) | instskip(SKIP_1) | instid1(SALU_CYCLE_1)
	s_add_co_u32 s11, s16, s18
	s_cselect_b32 s16, -1, 0
	s_cmp_lg_u32 s16, 0
	s_add_co_ci_u32 s18, s17, s19
	s_xor_b64 s[16:17], s[20:21], 0
	s_mov_b32 s19, s3
	s_mul_hi_u32 s21, s16, s18
	s_mul_i32 s20, s16, s18
	s_mul_hi_u32 s22, s16, s11
	s_mul_hi_u32 s25, s17, s11
	s_mul_i32 s11, s17, s11
	s_add_nc_u64 s[20:21], s[22:23], s[20:21]
	s_mul_hi_u32 s24, s17, s18
	s_add_co_u32 s11, s20, s11
	s_mul_i32 s22, s17, s18
	s_add_co_ci_u32 s18, s21, s25
	s_add_co_ci_u32 s23, s24, 0
	s_delay_alu instid0(SALU_CYCLE_1) | instskip(NEXT) | instid1(SALU_CYCLE_1)
	s_add_nc_u64 s[18:19], s[18:19], s[22:23]
	s_and_b64 s[20:21], s[18:19], 0xffffffff00000000
	s_delay_alu instid0(SALU_CYCLE_1) | instskip(NEXT) | instid1(SALU_CYCLE_1)
	s_or_b32 s20, s20, s18
	s_mul_u64 s[18:19], s[14:15], s[20:21]
	s_delay_alu instid0(SALU_CYCLE_1)
	s_sub_co_u32 s11, s16, s18
	s_cselect_b32 s16, -1, 0
	s_sub_co_i32 s18, s17, s19
	s_cmp_lg_u32 s16, 0
	s_sub_co_ci_u32 s18, s18, s15
	s_sub_co_u32 s20, s11, s14
	s_cselect_b32 s21, -1, 0
	s_delay_alu instid0(SALU_CYCLE_1) | instskip(SKIP_1) | instid1(SALU_CYCLE_1)
	s_cmp_lg_u32 s21, 0
	s_sub_co_ci_u32 s22, s18, 0
	s_cmp_ge_u32 s22, s15
	s_cselect_b32 s23, -1, 0
	s_cmp_ge_u32 s20, s14
	s_cselect_b32 s24, -1, 0
	s_cmp_eq_u32 s22, s15
	s_cselect_b32 s23, s24, s23
	s_cmp_lg_u32 s21, 0
	s_sub_co_ci_u32 s18, s18, s15
	s_sub_co_u32 s21, s20, s14
	s_cselect_b32 s24, -1, 0
	s_delay_alu instid0(SALU_CYCLE_1)
	s_cmp_lg_u32 s24, 0
	s_sub_co_ci_u32 s18, s18, 0
	s_cmp_lg_u32 s23, 0
	s_cselect_b32 s20, s21, s20
	s_cselect_b32 s18, s18, s22
	s_cmp_lg_u32 s16, 0
	s_sub_co_ci_u32 s16, s17, s19
	s_delay_alu instid0(SALU_CYCLE_1)
	s_cmp_ge_u32 s16, s15
	s_cselect_b32 s17, -1, 0
	s_cmp_ge_u32 s11, s14
	s_cselect_b32 s14, -1, 0
	s_cmp_eq_u32 s16, s15
	s_cselect_b32 s14, s14, s17
	s_delay_alu instid0(SALU_CYCLE_1) | instskip(SKIP_2) | instid1(SALU_CYCLE_1)
	s_cmp_lg_u32 s14, 0
	s_cselect_b32 s15, s18, s16
	s_cselect_b32 s14, s20, s11
	s_xor_b64 s[14:15], s[14:15], 0
	s_delay_alu instid0(SALU_CYCLE_1)
	s_sub_nc_u64 s[20:21], s[14:15], 0
	s_and_not1_b32 vcc_lo, exec_lo, s3
	s_cbranch_vccnz .LBB15_3
.LBB15_2:
	v_cvt_f32_u32_e32 v1, s10
	s_sub_co_i32 s11, 0, s10
	s_mov_b32 s21, 0
	s_delay_alu instid0(VALU_DEP_1) | instskip(SKIP_1) | instid1(TRANS32_DEP_1)
	v_rcp_iflag_f32_e32 v1, v1
	v_nop
	v_mul_f32_e32 v1, 0x4f7ffffe, v1
	s_delay_alu instid0(VALU_DEP_1) | instskip(NEXT) | instid1(VALU_DEP_1)
	v_cvt_u32_f32_e32 v1, v1
	v_readfirstlane_b32 s3, v1
	s_mul_i32 s11, s11, s3
	s_delay_alu instid0(SALU_CYCLE_1) | instskip(NEXT) | instid1(SALU_CYCLE_1)
	s_mul_hi_u32 s11, s3, s11
	s_add_co_i32 s3, s3, s11
	s_delay_alu instid0(SALU_CYCLE_1) | instskip(NEXT) | instid1(SALU_CYCLE_1)
	s_mul_hi_u32 s3, s2, s3
	s_mul_i32 s3, s3, s10
	s_delay_alu instid0(SALU_CYCLE_1) | instskip(NEXT) | instid1(SALU_CYCLE_1)
	s_sub_co_i32 s3, s2, s3
	s_sub_co_i32 s11, s3, s10
	s_cmp_ge_u32 s3, s10
	s_cselect_b32 s3, s11, s3
	s_delay_alu instid0(SALU_CYCLE_1)
	s_sub_co_i32 s11, s3, s10
	s_cmp_ge_u32 s3, s10
	s_cselect_b32 s20, s11, s3
.LBB15_3:
	s_load_b64 s[10:11], s[0:1], 0x90
	s_bfe_u32 s3, ttmp6, 0x40014
	s_lshr_b32 s14, ttmp7, 16
	s_add_co_i32 s3, s3, 1
	s_bfe_u32 s15, ttmp6, 0x40008
	s_mul_i32 s3, s14, s3
	s_mov_b32 s23, 0
	s_add_co_i32 s15, s15, s3
	s_cmp_eq_u32 s28, 0
	s_cselect_b32 s22, s14, s15
	s_and_b64 s[14:15], s[12:13], 0xffffffff00000000
	s_delay_alu instid0(SALU_CYCLE_1)
	s_cmp_lg_u64 s[14:15], 0
	s_cbranch_scc0 .LBB15_11
; %bb.4:
	s_ashr_i32 s14, s13, 31
	s_mov_b32 s25, s23
	s_mov_b32 s15, s14
	;; [unrolled: 1-line block ×3, first 2 shown]
	s_add_nc_u64 s[16:17], s[12:13], s[14:15]
	s_delay_alu instid0(SALU_CYCLE_1) | instskip(NEXT) | instid1(SALU_CYCLE_1)
	s_xor_b64 s[14:15], s[16:17], s[14:15]
	s_cvt_f32_u32 s3, s14
	s_cvt_f32_u32 s13, s15
	s_sub_nc_u64 s[18:19], 0, s[14:15]
	s_delay_alu instid0(SALU_CYCLE_2) | instskip(NEXT) | instid1(SALU_CYCLE_3)
	s_fmamk_f32 s3, s13, 0x4f800000, s3
	v_s_rcp_f32 s3, s3
	s_delay_alu instid0(TRANS32_DEP_1) | instskip(NEXT) | instid1(SALU_CYCLE_3)
	s_mul_f32 s3, s3, 0x5f7ffffc
	s_mul_f32 s13, s3, 0x2f800000
	s_delay_alu instid0(SALU_CYCLE_3) | instskip(NEXT) | instid1(SALU_CYCLE_3)
	s_trunc_f32 s13, s13
	s_fmamk_f32 s3, s13, 0xcf800000, s3
	s_cvt_u32_f32 s17, s13
	s_delay_alu instid0(SALU_CYCLE_2) | instskip(NEXT) | instid1(SALU_CYCLE_3)
	s_cvt_u32_f32 s16, s3
	s_mul_u64 s[26:27], s[18:19], s[16:17]
	s_delay_alu instid0(SALU_CYCLE_1)
	s_mul_hi_u32 s35, s16, s27
	s_mul_i32 s34, s16, s27
	s_mul_hi_u32 s24, s16, s26
	s_mul_i32 s13, s17, s26
	s_add_nc_u64 s[24:25], s[24:25], s[34:35]
	s_mul_hi_u32 s3, s17, s26
	s_mul_hi_u32 s29, s17, s27
	s_add_co_u32 s13, s24, s13
	s_add_co_ci_u32 s30, s25, s3
	s_mul_i32 s26, s17, s27
	s_add_co_ci_u32 s27, s29, 0
	s_delay_alu instid0(SALU_CYCLE_1) | instskip(SKIP_3) | instid1(SALU_CYCLE_1)
	s_add_nc_u64 s[24:25], s[30:31], s[26:27]
	s_mov_b32 s27, s23
	s_add_co_u32 s16, s16, s24
	s_cselect_b32 s3, -1, 0
	s_cmp_lg_u32 s3, 0
	s_add_co_ci_u32 s17, s17, s25
	s_mov_b32 s25, s23
	s_mul_u64 s[18:19], s[18:19], s[16:17]
	s_delay_alu instid0(SALU_CYCLE_1)
	s_mul_hi_u32 s31, s16, s19
	s_mul_i32 s30, s16, s19
	s_mul_hi_u32 s24, s16, s18
	s_mul_i32 s13, s17, s18
	s_add_nc_u64 s[24:25], s[24:25], s[30:31]
	s_mul_hi_u32 s3, s17, s18
	s_mul_hi_u32 s29, s17, s19
	s_add_co_u32 s13, s24, s13
	s_add_co_ci_u32 s26, s25, s3
	s_mul_i32 s18, s17, s19
	s_add_co_ci_u32 s19, s29, 0
	s_add_nc_u64 s[24:25], s[22:23], 0
	s_add_nc_u64 s[18:19], s[26:27], s[18:19]
	s_delay_alu instid0(SALU_CYCLE_1) | instskip(SKIP_1) | instid1(SALU_CYCLE_1)
	s_add_co_u32 s3, s16, s18
	s_cselect_b32 s13, -1, 0
	s_cmp_lg_u32 s13, 0
	s_add_co_ci_u32 s13, s17, s19
	s_xor_b64 s[16:17], s[24:25], 0
	s_mov_b32 s19, s23
	s_mul_hi_u32 s25, s16, s13
	s_mul_i32 s24, s16, s13
	s_mul_hi_u32 s26, s16, s3
	s_mul_hi_u32 s18, s17, s3
	s_mul_i32 s3, s17, s3
	s_add_nc_u64 s[24:25], s[26:27], s[24:25]
	s_mul_hi_u32 s29, s17, s13
	s_add_co_u32 s3, s24, s3
	s_add_co_ci_u32 s18, s25, s18
	s_mul_i32 s26, s17, s13
	s_add_co_ci_u32 s27, s29, 0
	s_delay_alu instid0(SALU_CYCLE_1) | instskip(NEXT) | instid1(SALU_CYCLE_1)
	s_add_nc_u64 s[18:19], s[18:19], s[26:27]
	s_and_b64 s[24:25], s[18:19], 0xffffffff00000000
	s_delay_alu instid0(SALU_CYCLE_1) | instskip(NEXT) | instid1(SALU_CYCLE_1)
	s_or_b32 s24, s24, s18
	s_mul_u64 s[18:19], s[14:15], s[24:25]
	s_delay_alu instid0(SALU_CYCLE_1)
	s_sub_co_u32 s3, s16, s18
	s_cselect_b32 s13, -1, 0
	s_sub_co_i32 s16, s17, s19
	s_cmp_lg_u32 s13, 0
	s_sub_co_ci_u32 s16, s16, s15
	s_sub_co_u32 s18, s3, s14
	s_cselect_b32 s24, -1, 0
	s_delay_alu instid0(SALU_CYCLE_1) | instskip(SKIP_1) | instid1(SALU_CYCLE_1)
	s_cmp_lg_u32 s24, 0
	s_sub_co_ci_u32 s25, s16, 0
	s_cmp_ge_u32 s25, s15
	s_cselect_b32 s26, -1, 0
	s_cmp_ge_u32 s18, s14
	s_cselect_b32 s27, -1, 0
	s_cmp_eq_u32 s25, s15
	s_cselect_b32 s26, s27, s26
	s_cmp_lg_u32 s24, 0
	s_sub_co_ci_u32 s16, s16, s15
	s_sub_co_u32 s24, s18, s14
	s_cselect_b32 s27, -1, 0
	s_delay_alu instid0(SALU_CYCLE_1)
	s_cmp_lg_u32 s27, 0
	s_sub_co_ci_u32 s16, s16, 0
	s_cmp_lg_u32 s26, 0
	s_cselect_b32 s18, s24, s18
	s_cselect_b32 s16, s16, s25
	s_cmp_lg_u32 s13, 0
	s_sub_co_ci_u32 s13, s17, s19
	s_delay_alu instid0(SALU_CYCLE_1)
	s_cmp_ge_u32 s13, s15
	s_cselect_b32 s17, -1, 0
	s_cmp_ge_u32 s3, s14
	s_cselect_b32 s14, -1, 0
	s_cmp_eq_u32 s13, s15
	s_cselect_b32 s14, s14, s17
	s_delay_alu instid0(SALU_CYCLE_1) | instskip(SKIP_2) | instid1(SALU_CYCLE_1)
	s_cmp_lg_u32 s14, 0
	s_cselect_b32 s15, s16, s13
	s_cselect_b32 s14, s18, s3
	s_xor_b64 s[14:15], s[14:15], 0
	s_delay_alu instid0(SALU_CYCLE_1)
	s_sub_nc_u64 s[24:25], s[14:15], 0
	s_and_not1_b32 vcc_lo, exec_lo, s23
	s_cbranch_vccnz .LBB15_6
.LBB15_5:
	v_cvt_f32_u32_e32 v1, s12
	s_sub_co_i32 s13, 0, s12
	s_mov_b32 s25, 0
	s_delay_alu instid0(VALU_DEP_1) | instskip(SKIP_1) | instid1(TRANS32_DEP_1)
	v_rcp_iflag_f32_e32 v1, v1
	v_nop
	v_mul_f32_e32 v1, 0x4f7ffffe, v1
	s_delay_alu instid0(VALU_DEP_1) | instskip(NEXT) | instid1(VALU_DEP_1)
	v_cvt_u32_f32_e32 v1, v1
	v_readfirstlane_b32 s3, v1
	s_mul_i32 s13, s13, s3
	s_delay_alu instid0(SALU_CYCLE_1) | instskip(NEXT) | instid1(SALU_CYCLE_1)
	s_mul_hi_u32 s13, s3, s13
	s_add_co_i32 s3, s3, s13
	s_delay_alu instid0(SALU_CYCLE_1) | instskip(NEXT) | instid1(SALU_CYCLE_1)
	s_mul_hi_u32 s3, s22, s3
	s_mul_i32 s3, s3, s12
	s_delay_alu instid0(SALU_CYCLE_1) | instskip(NEXT) | instid1(SALU_CYCLE_1)
	s_sub_co_i32 s3, s22, s3
	s_sub_co_i32 s13, s3, s12
	s_cmp_ge_u32 s3, s12
	s_cselect_b32 s3, s13, s3
	s_delay_alu instid0(SALU_CYCLE_1)
	s_sub_co_i32 s13, s3, s12
	s_cmp_ge_u32 s3, s12
	s_cselect_b32 s24, s13, s3
.LBB15_6:
	s_load_b64 s[26:27], s[0:1], 0xa0
	v_mov_b32_e32 v6, 1.0
	s_wait_kmcnt 0x0
	s_cmp_le_f32 s11, 0
	s_cbranch_scc1 .LBB15_8
; %bb.7:
	s_clause 0x1
	s_load_b32 s3, s[0:1], 0x28
	s_load_b64 s[12:13], s[0:1], 0x98
	s_add_co_i32 s14, s2, 1
	s_wait_kmcnt 0x0
	s_sub_co_i32 s11, s2, s3
	s_delay_alu instid0(SALU_CYCLE_1) | instskip(NEXT) | instid1(SALU_CYCLE_1)
	s_lshl_b32 s11, s11, 1
	s_or_b32 s11, s11, 1
	s_cmp_lt_u32 s2, s3
	s_cselect_b32 s3, s14, s11
	s_cselect_b32 s12, s12, s13
	s_cvt_f32_i32 s3, s3
	s_cmp_neq_f32 s12, 1.0
	s_delay_alu instid0(SALU_CYCLE_2) | instskip(NEXT) | instid1(SALU_CYCLE_1)
	s_cselect_b32 s11, s3, 1.0
	s_cmp_neq_f32 s11, 0
	s_cselect_b32 s3, s12, 1.0
	s_delay_alu instid0(SALU_CYCLE_1) | instskip(NEXT) | instid1(VALU_DEP_1)
	v_cvt_f64_f32_e64 v[2:3], |s3|
	v_frexp_exp_i32_f64_e32 v1, v[2:3]
	v_frexp_mant_f32_e64 v2, |s3|
	s_delay_alu instid0(VALU_DEP_1) | instskip(SKIP_2) | instid1(SALU_CYCLE_1)
	v_readfirstlane_b32 s12, v2
	s_cmp_lt_f32 s12, 0x3f2aaaab
	s_cselect_b32 vcc_lo, -1, 0
	s_and_b32 s13, vcc_lo, exec_lo
	s_cselect_b32 s13, 2.0, 1.0
	s_delay_alu instid0(SALU_CYCLE_1) | instskip(NEXT) | instid1(SALU_CYCLE_3)
	s_mul_f32 s12, s12, s13
	s_add_f32 s13, s12, 1.0
	s_add_f32 s15, s12, -1.0
	s_delay_alu instid0(SALU_CYCLE_2) | instskip(SKIP_2) | instid1(SALU_CYCLE_2)
	v_s_rcp_f32 s14, s13
	s_add_f32 s18, s13, -1.0
	v_subrev_co_ci_u32_e64 v1, null, 0, v1, vcc_lo
	s_sub_f32 s12, s12, s18
	s_delay_alu instid0(TRANS32_DEP_1) | instskip(SKIP_1) | instid1(SALU_CYCLE_2)
	s_mul_f32 s16, s15, s14
	v_cvt_f32_i32_e32 v1, v1
	s_mul_f32 s17, s13, s16
	s_delay_alu instid0(SALU_CYCLE_3) | instskip(SKIP_1) | instid1(SALU_CYCLE_1)
	v_dual_mov_b32 v3, s15 :: v_dual_mov_b32 v4, s17
	s_xor_b32 s19, s17, 0x80000000
	s_fmac_f32 s19, s16, s13
	s_delay_alu instid0(SALU_CYCLE_3) | instskip(NEXT) | instid1(SALU_CYCLE_3)
	s_fmac_f32 s19, s16, s12
	s_add_f32 s12, s17, s19
	v_mov_b32_e32 v6, s19
	s_mov_b32 s17, 0x3e76c4e1
	s_delay_alu instid0(SALU_CYCLE_1) | instskip(SKIP_1) | instid1(SALU_CYCLE_2)
	s_sub_f32 s13, s15, s12
	v_dual_mov_b32 v2, s12 :: v_dual_mov_b32 v7, s12
	v_mov_b32_e32 v5, s13
	s_delay_alu instid0(VALU_DEP_1) | instskip(NEXT) | instid1(VALU_DEP_1)
	v_pk_add_f32 v[2:3], v[2:3], v[4:5] neg_lo:[0,1] neg_hi:[0,1]
	v_pk_add_f32 v[2:3], v[2:3], v[6:7] neg_lo:[0,1] neg_hi:[0,1]
	s_delay_alu instid0(VALU_DEP_1) | instskip(NEXT) | instid1(VALU_DEP_2)
	v_readfirstlane_b32 s12, v3
	v_readfirstlane_b32 s15, v2
	s_add_f32 s12, s15, s12
	s_delay_alu instid0(SALU_CYCLE_3) | instskip(NEXT) | instid1(SALU_CYCLE_3)
	s_add_f32 s12, s13, s12
	s_mul_f32 s13, s14, s12
	s_delay_alu instid0(SALU_CYCLE_3) | instskip(NEXT) | instid1(SALU_CYCLE_3)
	s_add_f32 s12, s16, s13
	s_sub_f32 s14, s12, s16
	s_mul_f32 s15, s12, s12
	s_delay_alu instid0(SALU_CYCLE_2) | instskip(NEXT) | instid1(SALU_CYCLE_2)
	s_sub_f32 s16, s13, s14
	s_xor_b32 s13, s15, 0x80000000
	s_delay_alu instid0(SALU_CYCLE_1) | instskip(NEXT) | instid1(SALU_CYCLE_1)
	s_fmac_f32 s13, s12, s12
	s_add_f32 s14, s16, s16
	s_delay_alu instid0(SALU_CYCLE_3) | instskip(NEXT) | instid1(SALU_CYCLE_3)
	s_fmac_f32 s13, s12, s14
	s_add_f32 s14, s15, s13
	s_delay_alu instid0(SALU_CYCLE_3) | instskip(SKIP_1) | instid1(SALU_CYCLE_2)
	s_fmaak_f32 s17, s14, s17, 0x3e91f4c4
	s_sub_f32 s15, s14, s15
	s_fmaak_f32 s17, s14, s17, 0x3ecccdef
	s_delay_alu instid0(SALU_CYCLE_2) | instskip(NEXT) | instid1(SALU_CYCLE_2)
	s_sub_f32 s23, s13, s15
	s_mul_f32 s18, s14, s17
	s_delay_alu instid0(SALU_CYCLE_3) | instskip(NEXT) | instid1(SALU_CYCLE_1)
	s_xor_b32 s19, s18, 0x80000000
	s_fmac_f32 s19, s14, s17
	s_delay_alu instid0(SALU_CYCLE_3) | instskip(NEXT) | instid1(SALU_CYCLE_3)
	s_fmac_f32 s19, s23, s17
	s_add_f32 s15, s18, s19
	s_delay_alu instid0(SALU_CYCLE_3) | instskip(SKIP_1) | instid1(SALU_CYCLE_2)
	s_sub_f32 s13, s15, s18
	s_add_f32 s17, s15, 0x3f2aaaaa
	s_sub_f32 s13, s19, s13
	s_delay_alu instid0(SALU_CYCLE_2) | instskip(NEXT) | instid1(SALU_CYCLE_2)
	s_add_f32 s18, s17, 0xbf2aaaaa
	s_add_f32 s13, s13, 0x31739010
	s_delay_alu instid0(SALU_CYCLE_2) | instskip(NEXT) | instid1(SALU_CYCLE_2)
	s_sub_f32 s15, s15, s18
	v_mov_b64_e32 v[2:3], s[12:13]
	s_delay_alu instid0(SALU_CYCLE_2) | instskip(NEXT) | instid1(VALU_DEP_1)
	v_mov_b64_e32 v[4:5], s[14:15]
	v_pk_mul_f32 v[6:7], v[2:3], v[4:5]
	v_pk_add_f32 v[2:3], v[2:3], v[4:5]
	v_mov_b32_e32 v9, s17
	s_delay_alu instid0(VALU_DEP_3) | instskip(NEXT) | instid1(VALU_DEP_3)
	v_xor_b32_e32 v8, 0x80000000, v6
	v_mov_b32_e32 v7, v3
	s_delay_alu instid0(VALU_DEP_2) | instskip(NEXT) | instid1(VALU_DEP_1)
	v_fmac_f32_e64 v8, s14, s12
	v_fmac_f32_e64 v8, s14, s16
	s_delay_alu instid0(VALU_DEP_1) | instskip(NEXT) | instid1(VALU_DEP_1)
	v_fmac_f32_e64 v8, s23, s12
	v_pk_add_f32 v[4:5], v[6:7], v[8:9]
	s_delay_alu instid0(VALU_DEP_1) | instskip(SKIP_1) | instid1(VALU_DEP_2)
	v_dual_mov_b32 v2, v5 :: v_dual_sub_f32 v7, s17, v5
	v_mul_f32_e32 v12, 0x3f317218, v1
	v_pk_mul_f32 v[10:11], v[4:5], v[2:3]
	s_delay_alu instid0(VALU_DEP_3) | instskip(NEXT) | instid1(VALU_DEP_3)
	v_add_f32_e32 v3, v3, v7
	v_xor_b32_e32 v7, 0x80000000, v12
	s_delay_alu instid0(VALU_DEP_3) | instskip(NEXT) | instid1(VALU_DEP_2)
	v_xor_b32_e32 v2, 0x80000000, v10
	v_dual_sub_f32 v6, v4, v6 :: v_dual_fmac_f32 v7, 0x3f317218, v1
	s_delay_alu instid0(VALU_DEP_2) | instskip(NEXT) | instid1(VALU_DEP_2)
	v_fmac_f32_e32 v2, v4, v5
	v_sub_f32_e32 v6, v8, v6
	s_delay_alu instid0(VALU_DEP_2) | instskip(NEXT) | instid1(VALU_DEP_1)
	v_fmac_f32_e32 v2, v4, v3
	v_fmac_f32_e32 v2, v6, v5
	v_fmamk_f32 v4, v1, 0xb102e308, v7
	v_ldexp_f32 v5, s12, 1
	v_ldexp_f32 v1, s16, 1
	s_delay_alu instid0(VALU_DEP_2) | instskip(NEXT) | instid1(VALU_DEP_1)
	v_dual_add_f32 v13, v10, v2 :: v_dual_mov_b32 v11, v5
	v_pk_add_f32 v[6:7], v[12:13], v[4:5]
	v_dual_mov_b32 v8, v13 :: v_dual_mov_b32 v3, v13
	s_delay_alu instid0(VALU_DEP_2) | instskip(SKIP_1) | instid1(VALU_DEP_2)
	v_dual_mov_b32 v9, v7 :: v_dual_mov_b32 v5, v6
	v_mov_b32_e32 v14, v7
	v_pk_add_f32 v[8:9], v[8:9], v[10:11] neg_lo:[0,1] neg_hi:[0,1]
	s_delay_alu instid0(VALU_DEP_1) | instskip(NEXT) | instid1(VALU_DEP_1)
	v_pk_add_f32 v[2:3], v[2:3], v[8:9] neg_lo:[0,1] neg_hi:[0,1]
	v_add_f32_e32 v1, v1, v2
	s_delay_alu instid0(VALU_DEP_1) | instskip(NEXT) | instid1(VALU_DEP_1)
	v_add_f32_e32 v13, v1, v3
	v_pk_add_f32 v[2:3], v[6:7], v[12:13]
	v_pk_add_f32 v[8:9], v[6:7], v[12:13] neg_lo:[0,1] neg_hi:[0,1]
	s_delay_alu instid0(VALU_DEP_2) | instskip(NEXT) | instid1(VALU_DEP_1)
	v_mov_b32_e32 v9, v3
	v_pk_add_f32 v[10:11], v[4:5], v[8:9]
	v_pk_add_f32 v[4:5], v[4:5], v[8:9] neg_lo:[0,1] neg_hi:[0,1]
	v_dual_mov_b32 v16, v3 :: v_dual_mov_b32 v5, v6
	s_delay_alu instid0(VALU_DEP_3) | instskip(NEXT) | instid1(VALU_DEP_3)
	v_dual_mov_b32 v12, v11 :: v_dual_mov_b32 v17, v11
	v_readfirstlane_b32 s12, v4
	s_delay_alu instid0(VALU_DEP_2) | instskip(NEXT) | instid1(VALU_DEP_2)
	v_pk_add_f32 v[8:9], v[12:13], v[6:7] neg_lo:[0,1] neg_hi:[0,1]
	v_dual_mov_b32 v4, v13 :: v_dual_mov_b32 v10, s12
	s_delay_alu instid0(VALU_DEP_2) | instskip(NEXT) | instid1(VALU_DEP_1)
	v_dual_mov_b32 v15, v8 :: v_dual_mov_b32 v1, v8
	v_pk_add_f32 v[6:7], v[16:17], v[14:15] neg_lo:[0,1] neg_hi:[0,1]
	s_delay_alu instid0(VALU_DEP_2) | instskip(SKIP_1) | instid1(VALU_DEP_3)
	v_pk_add_f32 v[2:3], v[2:3], v[0:1] neg_lo:[0,1] neg_hi:[0,1]
	v_mov_b32_e32 v2, s12
	v_pk_add_f32 v[4:5], v[4:5], v[6:7] neg_lo:[0,1] neg_hi:[0,1]
	s_delay_alu instid0(VALU_DEP_1) | instskip(NEXT) | instid1(VALU_DEP_1)
	v_pk_add_f32 v[2:3], v[2:3], v[4:5]
	v_readfirstlane_b32 s13, v2
	s_delay_alu instid0(VALU_DEP_2) | instskip(NEXT) | instid1(VALU_DEP_1)
	v_mov_b32_e32 v6, v3
	v_pk_add_f32 v[6:7], v[2:3], v[6:7]
	s_delay_alu instid0(VALU_DEP_3) | instskip(NEXT) | instid1(VALU_DEP_2)
	v_mov_b32_e32 v2, s13
	v_pk_add_f32 v[8:9], v[12:13], v[6:7]
	v_mov_b32_e32 v5, v6
	s_delay_alu instid0(VALU_DEP_2) | instskip(NEXT) | instid1(VALU_DEP_1)
	v_readfirstlane_b32 s14, v8
	v_mov_b32_e32 v3, s14
	s_delay_alu instid0(VALU_DEP_1) | instskip(NEXT) | instid1(VALU_DEP_1)
	v_pk_add_f32 v[2:3], v[2:3], v[10:11] neg_lo:[0,1] neg_hi:[0,1]
	v_readfirstlane_b32 s15, v2
	s_delay_alu instid0(VALU_DEP_2) | instskip(SKIP_1) | instid1(VALU_DEP_1)
	v_pk_add_f32 v[2:3], v[4:5], v[2:3] neg_lo:[0,1] neg_hi:[0,1]
	s_sub_f32 s13, s13, s15
	v_readfirstlane_b32 s15, v2
	s_delay_alu instid0(SALU_CYCLE_2) | instskip(SKIP_1) | instid1(SALU_CYCLE_2)
	s_sub_f32 s12, s12, s13
	v_readfirstlane_b32 s13, v3
	s_add_f32 s12, s15, s12
	s_delay_alu instid0(SALU_CYCLE_3) | instskip(NEXT) | instid1(SALU_CYCLE_3)
	s_add_f32 s12, s12, s13
	s_add_f32 s13, s14, s12
	s_delay_alu instid0(SALU_CYCLE_3) | instskip(SKIP_1) | instid1(SALU_CYCLE_2)
	s_mul_f32 s15, s11, s13
	s_sub_f32 s14, s13, s14
	s_xor_b32 s16, s15, 0x80000000
	s_delay_alu instid0(SALU_CYCLE_2) | instskip(SKIP_1) | instid1(SALU_CYCLE_3)
	s_sub_f32 s12, s12, s14
	s_fmac_f32 s16, s11, s13
	s_fmac_f32 s16, s11, s12
	v_cmp_class_f32_e64 s12, s15, 0x204
	s_delay_alu instid0(SALU_CYCLE_2) | instskip(SKIP_1) | instid1(SALU_CYCLE_2)
	s_add_f32 s13, s15, s16
	s_and_b32 s12, s12, exec_lo
	s_sub_f32 s12, s13, s15
	s_cselect_b32 s13, s15, s13
	s_delay_alu instid0(SALU_CYCLE_1) | instskip(NEXT) | instid1(SALU_CYCLE_1)
	s_and_b32 s14, s13, 0x7fffffff
	s_sub_f32 s12, s16, s12
	s_cmp_neq_f32 s14, 0x7f800000
	s_delay_alu instid0(SALU_CYCLE_2) | instskip(SKIP_2) | instid1(SALU_CYCLE_1)
	s_cselect_b32 s12, s12, 0
	s_cmp_eq_f32 s13, 0x42b17218
	s_cselect_b32 s14, 0x37000000, 0
	s_sub_f32 s13, s13, s14
	s_add_f32 s12, s14, s12
	s_delay_alu instid0(SALU_CYCLE_2) | instskip(NEXT) | instid1(SALU_CYCLE_3)
	s_mul_f32 s15, s13, 0x3fb8aa3b
	s_xor_b32 s16, s15, 0x80000000
	s_rndne_f32 s17, s15
	s_fmamk_f32 s16, s13, 0x3fb8aa3b, s16
	s_cmp_nlt_f32 s13, 0xc2ce8ed0
	s_delay_alu instid0(SALU_CYCLE_1) | instskip(NEXT) | instid1(SALU_CYCLE_1)
	s_sub_f32 s15, s15, s17
	s_fmamk_f32 s16, s13, 0x32a5705f, s16
	s_cselect_b32 vcc_lo, -1, 0
	s_cmp_ngt_f32 s13, 0x42b17218
	s_trunc_f32 s13, s11
	s_add_f32 s15, s15, s16
	s_cvt_i32_f32 s16, s17
	s_delay_alu instid0(SALU_CYCLE_2)
	v_s_exp_f32 s15, s15
	v_nop
	s_delay_alu instid0(TRANS32_DEP_1) | instid1(SALU_CYCLE_1)
	v_ldexp_f32 v1, s15, s16
	s_mul_f32 s15, s11, 0.5
	s_delay_alu instid0(VALU_DEP_1) | instskip(SKIP_3) | instid1(VALU_DEP_1)
	v_cndmask_b32_e32 v1, 0, v1, vcc_lo
	s_cselect_b32 vcc_lo, -1, 0
	s_cmp_eq_f32 s13, s11
	s_trunc_f32 s16, s15
	v_cndmask_b32_e32 v1, 0x7f800000, v1, vcc_lo
	s_cselect_b32 s17, -1, 0
	s_delay_alu instid0(SALU_CYCLE_1) | instskip(NEXT) | instid1(VALU_DEP_1)
	s_cmp_neq_f32 s16, s15
	v_fma_f32 v2, s12, v1, v1
	v_cmp_class_f32_e64 vcc_lo, v1, 0x204
	s_cselect_b32 s14, -1, 0
	s_delay_alu instid0(SALU_CYCLE_1)
	s_and_b32 s12, s17, s14
	v_cndmask_b32_e32 v1, v2, v1, vcc_lo
	s_and_b32 s14, s12, exec_lo
	s_cselect_b32 s14, s3, 1.0
	s_cmp_eq_f32 s13, s11
	v_cmp_class_f32_e64 s13, s3, 0x204
	v_bfi_b32 v1, 0x7fffffff, v1, s14
	s_cselect_b32 vcc_lo, -1, 0
	s_cmp_lt_f32 s3, 0
	s_delay_alu instid0(VALU_DEP_1) | instskip(SKIP_2) | instid1(VALU_DEP_1)
	v_cndmask_b32_e32 v2, 0x7fc00000, v1, vcc_lo
	s_cselect_b32 vcc_lo, -1, 0
	s_cmp_eq_f32 s3, 0
	v_cndmask_b32_e32 v1, v1, v2, vcc_lo
	s_cselect_b32 s14, -1, 0
	s_delay_alu instid0(SALU_CYCLE_1) | instskip(SKIP_2) | instid1(SALU_CYCLE_1)
	s_or_b32 vcc_lo, s14, s13
	s_cmp_lt_f32 s11, 0
	s_cselect_b32 s11, -1, 0
	s_xor_b32 s11, s11, s14
	s_delay_alu instid0(SALU_CYCLE_1)
	s_and_b32 s11, s11, exec_lo
	s_cselect_b32 s11, 0, 0x7f800000
	s_and_b32 s12, s12, exec_lo
	s_cselect_b32 s12, s3, 0
	s_cmp_o_f32 s3, s3
	v_mov_b32_e32 v2, s12
	s_delay_alu instid0(VALU_DEP_1) | instskip(NEXT) | instid1(VALU_DEP_1)
	v_bfi_b32 v2, 0x7fffffff, s11, v2
	v_cndmask_b32_e32 v1, v1, v2, vcc_lo
	s_cselect_b32 vcc_lo, -1, 0
	s_delay_alu instid0(VALU_DEP_1)
	v_cndmask_b32_e32 v6, 0x7fc00000, v1, vcc_lo
.LBB15_8:
	s_load_b256 s[12:19], s[0:1], 0x0
	s_wait_kmcnt 0x0
	s_cmp_lg_u64 s[16:17], 0
	s_cselect_b32 s3, -1, 0
	s_cmp_eq_u64 s[16:17], 0
	s_cbranch_scc1 .LBB15_12
; %bb.9:
	s_load_b32 s11, s[16:17], s2 offset:0x0 scale_offset
	s_branch .LBB15_13
.LBB15_10:
                                        ; implicit-def: $sgpr20_sgpr21
	s_branch .LBB15_2
.LBB15_11:
                                        ; implicit-def: $sgpr24_sgpr25
	s_branch .LBB15_5
.LBB15_12:
	s_mov_b32 s11, 0xff800000
.LBB15_13:
	s_bfe_u32 s0, ttmp6, 0x4000c
	s_and_b32 s1, ttmp6, 15
	s_add_co_i32 s0, s0, 1
	s_mul_i32 s22, s27, s22
	s_mul_i32 s0, ttmp9, s0
	v_dual_mov_b32 v3, 0 :: v_dual_lshlrev_b32 v2, 2, v0
	s_add_co_i32 s1, s1, s0
	s_cmp_eq_u32 s28, 0
	s_cselect_b32 s0, ttmp9, s1
	s_add_co_i32 s1, s22, s2
	s_delay_alu instid0(SALU_CYCLE_1) | instskip(NEXT) | instid1(SALU_CYCLE_1)
	s_mul_i32 s1, s1, s26
	s_add_co_i32 s22, s1, s0
	s_mov_b32 s1, 0
	s_ashr_i32 s23, s22, 31
	s_mul_u64 s[0:1], s[4:5], s[0:1]
	s_lshl_b64 s[26:27], s[22:23], 13
	s_mul_u64 s[4:5], s[20:21], s[6:7]
	s_add_nc_u64 s[12:13], s[12:13], s[26:27]
	s_add_nc_u64 s[0:1], s[4:5], s[0:1]
	global_load_b32 v1, v0, s[12:13] scale_offset
	s_mul_u64 s[4:5], s[24:25], s[8:9]
	v_add_nc_u64_e32 v[4:5], s[12:13], v[2:3]
	s_add_nc_u64 s[0:1], s[0:1], s[4:5]
	v_mov_b32_e32 v2, 0
	s_lshr_b64 s[0:1], s[0:1], 2
	s_cmp_lg_u64 s[14:15], 0
	s_cselect_b32 s4, -1, 0
	s_delay_alu instid0(SALU_CYCLE_1) | instskip(SKIP_2) | instid1(SALU_CYCLE_1)
	s_and_b32 vcc_lo, s4, exec_lo
	s_cselect_b32 s1, s1, 0
	s_cselect_b32 s0, s0, 0
	s_lshl_b64 s[0:1], s[0:1], 2
	s_delay_alu instid0(SALU_CYCLE_1)
	s_add_nc_u64 s[0:1], s[14:15], s[0:1]
	s_cbranch_vccz .LBB15_15
; %bb.14:
	global_load_b32 v2, v0, s[0:1] scale_offset
	s_wait_loadcnt 0x0
	v_mul_f32_e32 v2, v6, v2
.LBB15_15:
	global_load_b32 v4, v[4:5], off offset:4096
	s_wait_loadcnt 0x1
	v_fmac_f32_e32 v2, s10, v1
	v_lshl_add_u32 v1, v0, 2, 0
	s_and_not1_b32 vcc_lo, exec_lo, s4
	ds_store_b32 v1, v2 offset:128
	s_cbranch_vccnz .LBB15_17
; %bb.16:
	global_load_b32 v3, v0, s[0:1] offset:4096 scale_offset
	s_wait_loadcnt 0x0
	v_mul_f32_e32 v3, v6, v3
.LBB15_17:
	v_mbcnt_lo_u32_b32 v7, -1, 0
	s_wait_loadcnt 0x0
	s_delay_alu instid0(VALU_DEP_1)
	v_dual_fmac_f32 v3, s10, v4 :: v_dual_bitop2_b32 v5, 16, v7 bitop3:0x14
	ds_store_b32 v1, v3 offset:4224
	v_xor_b32_e32 v6, 8, v7
	v_cmp_gt_i32_e32 vcc_lo, 32, v5
	v_cndmask_b32_e32 v4, v7, v5, vcc_lo
	s_wait_kmcnt 0x0
	v_max3_num_f32 v5, s11, v2, v3
	v_cmp_gt_i32_e32 vcc_lo, 32, v6
	s_delay_alu instid0(VALU_DEP_3) | instskip(SKIP_3) | instid1(VALU_DEP_1)
	v_dual_lshlrev_b32 v2, 2, v4 :: v_dual_cndmask_b32 v6, v7, v6, vcc_lo
	ds_bpermute_b32 v4, v2, v5
	s_wait_dscnt 0x0
	v_dual_max_num_f32 v8, v4, v4 :: v_dual_lshlrev_b32 v4, 2, v6
	v_dual_max_num_f32 v6, v5, v8 :: v_dual_bitop2_b32 v8, 4, v7 bitop3:0x14
	ds_bpermute_b32 v5, v4, v6
	v_cmp_gt_i32_e32 vcc_lo, 32, v8
	s_wait_dscnt 0x0
	v_dual_cndmask_b32 v8, v7, v8 :: v_dual_max_num_f32 v9, v5, v5
	s_delay_alu instid0(VALU_DEP_1) | instskip(SKIP_3) | instid1(VALU_DEP_1)
	v_dual_max_num_f32 v8, v6, v9 :: v_dual_lshlrev_b32 v5, 2, v8
	ds_bpermute_b32 v6, v5, v8
	s_wait_dscnt 0x0
	v_dual_max_num_f32 v10, v6, v6 :: v_dual_bitop2_b32 v9, 2, v7 bitop3:0x14
	v_cmp_gt_i32_e32 vcc_lo, 32, v9
	s_delay_alu instid0(VALU_DEP_2) | instskip(NEXT) | instid1(VALU_DEP_1)
	v_dual_max_num_f32 v8, v8, v10 :: v_dual_cndmask_b32 v9, v7, v9
	v_dual_lshlrev_b32 v6, 2, v9 :: v_dual_bitop2_b32 v10, 1, v7 bitop3:0x14
	s_delay_alu instid0(VALU_DEP_1) | instskip(SKIP_3) | instid1(VALU_DEP_1)
	v_cmp_gt_i32_e32 vcc_lo, 32, v10
	ds_bpermute_b32 v9, v6, v8
	v_cndmask_b32_e32 v7, v7, v10, vcc_lo
	s_wait_dscnt 0x0
	v_dual_lshlrev_b32 v7, 2, v7 :: v_dual_max_num_f32 v9, v9, v9
	s_delay_alu instid0(VALU_DEP_1) | instskip(SKIP_4) | instid1(SALU_CYCLE_1)
	v_dual_max_num_f32 v10, v8, v9 :: v_dual_bitop2_b32 v9, 31, v0 bitop3:0x40
	v_lshrrev_b32_e32 v8, 3, v0
	ds_bpermute_b32 v11, v7, v10
	v_cmp_eq_u32_e32 vcc_lo, 0, v9
	s_and_saveexec_b32 s0, vcc_lo
	s_xor_b32 s0, exec_lo, s0
	s_cbranch_execz .LBB15_19
; %bb.18:
	s_wait_dscnt 0x0
	v_dual_max_num_f32 v3, v11, v11 :: v_dual_max_num_f32 v10, v10, v10
	s_delay_alu instid0(VALU_DEP_1)
	v_dual_max_num_f32 v3, v10, v3 :: v_dual_add_nc_u32 v10, 0, v8
	ds_store_b32 v10, v3
.LBB15_19:
	s_or_b32 exec_lo, exec_lo, s0
	v_lshl_add_u32 v3, v9, 2, 0
	s_wait_dscnt 0x0
	s_barrier_signal -1
	s_barrier_wait -1
	ds_load_b32 v9, v3
	v_add_nc_u32_e32 v13, 0x80, v1
	s_wait_dscnt 0x0
	ds_bpermute_b32 v10, v2, v9
	s_wait_dscnt 0x0
	v_dual_max_num_f32 v9, v9, v9 :: v_dual_max_num_f32 v10, v10, v10
	s_delay_alu instid0(VALU_DEP_1) | instskip(SKIP_3) | instid1(VALU_DEP_1)
	v_max_num_f32_e32 v9, v9, v10
	ds_bpermute_b32 v10, v4, v9
	s_wait_dscnt 0x0
	v_max_num_f32_e32 v10, v10, v10
	v_max_num_f32_e32 v9, v9, v10
	ds_bpermute_b32 v10, v5, v9
	s_wait_dscnt 0x0
	v_max_num_f32_e32 v10, v10, v10
	s_delay_alu instid0(VALU_DEP_1) | instskip(SKIP_3) | instid1(VALU_DEP_1)
	v_max_num_f32_e32 v9, v9, v10
	ds_bpermute_b32 v10, v6, v9
	s_wait_dscnt 0x0
	v_max_num_f32_e32 v10, v10, v10
	v_max_num_f32_e32 v9, v9, v10
	ds_load_2addr_stride64_b32 v[10:11], v13 offset1:16
	ds_bpermute_b32 v12, v7, v9
	s_wait_dscnt 0x0
	v_max_num_f32_e32 v12, v12, v12
	s_delay_alu instid0(VALU_DEP_1) | instskip(NEXT) | instid1(VALU_DEP_1)
	v_max_num_f32_e32 v9, v9, v12
	v_sub_f32_e32 v10, v10, v9
	s_delay_alu instid0(VALU_DEP_1) | instskip(SKIP_1) | instid1(VALU_DEP_2)
	v_dual_mul_f32 v12, 0x3fb8aa3b, v10 :: v_dual_sub_f32 v11, v11, v9
	v_cmp_ngt_f32_e64 s0, 0xc2ce8ed0, v10
	v_fma_f32 v15, 0x3fb8aa3b, v10, -v12
	s_delay_alu instid0(VALU_DEP_3) | instskip(SKIP_1) | instid1(VALU_DEP_2)
	v_mul_f32_e32 v14, 0x3fb8aa3b, v11
	v_rndne_f32_e32 v16, v12
	v_fma_f32 v17, 0x3fb8aa3b, v11, -v14
	v_rndne_f32_e32 v18, v14
	s_delay_alu instid0(VALU_DEP_2) | instskip(NEXT) | instid1(VALU_DEP_2)
	v_dual_sub_f32 v12, v12, v16 :: v_dual_fmac_f32 v17, 0x32a5705f, v11
	v_sub_f32_e32 v14, v14, v18
	s_delay_alu instid0(VALU_DEP_1) | instskip(NEXT) | instid1(VALU_DEP_1)
	v_dual_fmac_f32 v15, 0x32a5705f, v10 :: v_dual_add_f32 v14, v14, v17
	v_add_f32_e32 v12, v12, v15
	v_cvt_i32_f32_e32 v15, v16
	v_cvt_i32_f32_e32 v16, v18
	s_delay_alu instid0(VALU_DEP_4) | instskip(NEXT) | instid1(VALU_DEP_3)
	v_exp_f32_e32 v14, v14
	v_exp_f32_e32 v12, v12
	s_delay_alu instid0(TRANS32_DEP_2) | instskip(NEXT) | instid1(TRANS32_DEP_1)
	v_ldexp_f32 v14, v14, v16
	v_ldexp_f32 v12, v12, v15
	s_delay_alu instid0(VALU_DEP_1) | instskip(SKIP_1) | instid1(VALU_DEP_1)
	v_cndmask_b32_e64 v12, 0, v12, s0
	v_cmp_ngt_f32_e64 s0, 0xc2ce8ed0, v11
	v_cndmask_b32_e64 v14, 0, v14, s0
	v_cmp_nlt_f32_e64 s0, 0x42b17218, v10
	s_delay_alu instid0(VALU_DEP_1) | instskip(SKIP_1) | instid1(VALU_DEP_1)
	v_cndmask_b32_e64 v12, 0x7f800000, v12, s0
	v_cmp_nlt_f32_e64 s0, 0x42b17218, v11
	v_cndmask_b32_e64 v14, 0x7f800000, v14, s0
	s_delay_alu instid0(VALU_DEP_1)
	v_add_f32_e32 v10, v12, v14
	ds_store_2addr_stride64_b32 v13, v12, v14 offset1:16
	ds_bpermute_b32 v11, v2, v10
	s_wait_dscnt 0x0
	v_add_f32_e32 v10, v10, v11
	ds_bpermute_b32 v11, v4, v10
	s_wait_dscnt 0x0
	v_add_f32_e32 v10, v10, v11
	;; [unrolled: 3-line block ×4, first 2 shown]
	ds_bpermute_b32 v11, v7, v10
	s_and_saveexec_b32 s0, vcc_lo
	s_cbranch_execz .LBB15_21
; %bb.20:
	s_wait_dscnt 0x0
	v_dual_add_f32 v10, v10, v11 :: v_dual_add_nc_u32 v8, 0, v8
	ds_store_b32 v8, v10
.LBB15_21:
	s_or_b32 exec_lo, exec_lo, s0
	s_wait_dscnt 0x0
	s_barrier_signal -1
	s_barrier_wait -1
	ds_load_b32 v3, v3
	s_and_not1_b32 vcc_lo, exec_lo, s3
	s_lshl_b64 s[0:1], s[22:23], 11
	s_wait_dscnt 0x0
	ds_bpermute_b32 v2, v2, v3
	s_wait_dscnt 0x0
	v_add_f32_e32 v2, v3, v2
	ds_bpermute_b32 v3, v4, v2
	s_wait_dscnt 0x0
	v_add_f32_e32 v2, v2, v3
	;; [unrolled: 3-line block ×5, first 2 shown]
	s_cbranch_vccnz .LBB15_23
; %bb.22:
	s_load_b32 s2, s[16:17], s2 offset:0x0 scale_offset
	s_wait_kmcnt 0x0
	v_sub_f32_e32 v3, s2, v9
	s_delay_alu instid0(VALU_DEP_1) | instskip(NEXT) | instid1(VALU_DEP_1)
	v_mul_f32_e32 v4, 0x3fb8aa3b, v3
	v_fma_f32 v5, 0x3fb8aa3b, v3, -v4
	v_rndne_f32_e32 v6, v4
	s_delay_alu instid0(VALU_DEP_1) | instskip(SKIP_1) | instid1(VALU_DEP_4)
	v_sub_f32_e32 v4, v4, v6
	v_cmp_ngt_f32_e32 vcc_lo, 0xc2ce8ed0, v3
	v_fmamk_f32 v5, v3, 0x32a5705f, v5
	s_delay_alu instid0(VALU_DEP_1) | instskip(SKIP_1) | instid1(VALU_DEP_2)
	v_add_f32_e32 v4, v4, v5
	v_cvt_i32_f32_e32 v5, v6
	v_exp_f32_e32 v4, v4
	v_nop
	s_delay_alu instid0(TRANS32_DEP_1) | instskip(NEXT) | instid1(VALU_DEP_1)
	v_ldexp_f32 v4, v4, v5
	v_cndmask_b32_e32 v4, 0, v4, vcc_lo
	v_cmp_nlt_f32_e32 vcc_lo, 0x42b17218, v3
	s_delay_alu instid0(VALU_DEP_2) | instskip(NEXT) | instid1(VALU_DEP_1)
	v_cndmask_b32_e32 v3, 0x7f800000, v4, vcc_lo
	v_add_f32_e32 v2, v2, v3
.LBB15_23:
	s_delay_alu instid0(VALU_DEP_1)
	v_div_scale_f32 v3, null, v2, v2, 1.0
	v_div_scale_f32 v7, vcc_lo, 1.0, v2, 1.0
	s_lshl_b64 s[0:1], s[0:1], 2
	v_rcp_f32_e32 v6, v3
	s_add_nc_u64 s[0:1], s[18:19], s[0:1]
	v_add_nc_u32_e32 v1, 0x80, v1
	s_delay_alu instid0(TRANS32_DEP_1) | instskip(NEXT) | instid1(VALU_DEP_1)
	v_fma_f32 v4, -v3, v6, 1.0
	v_fmac_f32_e32 v6, v4, v6
	ds_load_2addr_stride64_b32 v[4:5], v1 offset1:16
	v_mul_f32_e32 v8, v7, v6
	s_delay_alu instid0(VALU_DEP_1) | instskip(NEXT) | instid1(VALU_DEP_1)
	v_fma_f32 v9, -v3, v8, v7
	v_fmac_f32_e32 v8, v9, v6
	s_delay_alu instid0(VALU_DEP_1) | instskip(NEXT) | instid1(VALU_DEP_1)
	v_fma_f32 v1, -v3, v8, v7
	v_div_fmas_f32 v1, v1, v6, v8
	s_delay_alu instid0(VALU_DEP_1) | instskip(SKIP_1) | instid1(VALU_DEP_1)
	v_div_fixup_f32 v1, v1, v2, 1.0
	s_wait_dscnt 0x0
	v_dual_mul_f32 v2, v1, v4 :: v_dual_mul_f32 v1, v1, v5
	s_clause 0x1
	global_store_b32 v0, v2, s[0:1] scale_offset
	global_store_b32 v0, v1, s[0:1] offset:4096 scale_offset
	s_endpgm
	.section	.rodata,"a",@progbits
	.p2align	6, 0x0
	.amdhsa_kernel _ZL12soft_max_f32ILb1ELi2048ELi1024EfEvPKfPKT2_S1_Pf15soft_max_params
		.amdhsa_group_segment_fixed_size 0
		.amdhsa_private_segment_fixed_size 0
		.amdhsa_kernarg_size 416
		.amdhsa_user_sgpr_count 2
		.amdhsa_user_sgpr_dispatch_ptr 0
		.amdhsa_user_sgpr_queue_ptr 0
		.amdhsa_user_sgpr_kernarg_segment_ptr 1
		.amdhsa_user_sgpr_dispatch_id 0
		.amdhsa_user_sgpr_kernarg_preload_length 0
		.amdhsa_user_sgpr_kernarg_preload_offset 0
		.amdhsa_user_sgpr_private_segment_size 0
		.amdhsa_wavefront_size32 1
		.amdhsa_uses_dynamic_stack 0
		.amdhsa_enable_private_segment 0
		.amdhsa_system_sgpr_workgroup_id_x 1
		.amdhsa_system_sgpr_workgroup_id_y 1
		.amdhsa_system_sgpr_workgroup_id_z 1
		.amdhsa_system_sgpr_workgroup_info 0
		.amdhsa_system_vgpr_workitem_id 0
		.amdhsa_next_free_vgpr 19
		.amdhsa_next_free_sgpr 36
		.amdhsa_named_barrier_count 0
		.amdhsa_reserve_vcc 1
		.amdhsa_float_round_mode_32 0
		.amdhsa_float_round_mode_16_64 0
		.amdhsa_float_denorm_mode_32 3
		.amdhsa_float_denorm_mode_16_64 3
		.amdhsa_fp16_overflow 0
		.amdhsa_memory_ordered 1
		.amdhsa_forward_progress 1
		.amdhsa_inst_pref_size 36
		.amdhsa_round_robin_scheduling 0
		.amdhsa_exception_fp_ieee_invalid_op 0
		.amdhsa_exception_fp_denorm_src 0
		.amdhsa_exception_fp_ieee_div_zero 0
		.amdhsa_exception_fp_ieee_overflow 0
		.amdhsa_exception_fp_ieee_underflow 0
		.amdhsa_exception_fp_ieee_inexact 0
		.amdhsa_exception_int_div_zero 0
	.end_amdhsa_kernel
	.section	.text._ZL12soft_max_f32ILb1ELi2048ELi1024EfEvPKfPKT2_S1_Pf15soft_max_params,"axG",@progbits,_ZL12soft_max_f32ILb1ELi2048ELi1024EfEvPKfPKT2_S1_Pf15soft_max_params,comdat
.Lfunc_end15:
	.size	_ZL12soft_max_f32ILb1ELi2048ELi1024EfEvPKfPKT2_S1_Pf15soft_max_params, .Lfunc_end15-_ZL12soft_max_f32ILb1ELi2048ELi1024EfEvPKfPKT2_S1_Pf15soft_max_params
                                        ; -- End function
	.set _ZL12soft_max_f32ILb1ELi2048ELi1024EfEvPKfPKT2_S1_Pf15soft_max_params.num_vgpr, 19
	.set _ZL12soft_max_f32ILb1ELi2048ELi1024EfEvPKfPKT2_S1_Pf15soft_max_params.num_agpr, 0
	.set _ZL12soft_max_f32ILb1ELi2048ELi1024EfEvPKfPKT2_S1_Pf15soft_max_params.numbered_sgpr, 36
	.set _ZL12soft_max_f32ILb1ELi2048ELi1024EfEvPKfPKT2_S1_Pf15soft_max_params.num_named_barrier, 0
	.set _ZL12soft_max_f32ILb1ELi2048ELi1024EfEvPKfPKT2_S1_Pf15soft_max_params.private_seg_size, 0
	.set _ZL12soft_max_f32ILb1ELi2048ELi1024EfEvPKfPKT2_S1_Pf15soft_max_params.uses_vcc, 1
	.set _ZL12soft_max_f32ILb1ELi2048ELi1024EfEvPKfPKT2_S1_Pf15soft_max_params.uses_flat_scratch, 0
	.set _ZL12soft_max_f32ILb1ELi2048ELi1024EfEvPKfPKT2_S1_Pf15soft_max_params.has_dyn_sized_stack, 0
	.set _ZL12soft_max_f32ILb1ELi2048ELi1024EfEvPKfPKT2_S1_Pf15soft_max_params.has_recursion, 0
	.set _ZL12soft_max_f32ILb1ELi2048ELi1024EfEvPKfPKT2_S1_Pf15soft_max_params.has_indirect_call, 0
	.section	.AMDGPU.csdata,"",@progbits
; Kernel info:
; codeLenInByte = 4540
; TotalNumSgprs: 38
; NumVgprs: 19
; ScratchSize: 0
; MemoryBound: 0
; FloatMode: 240
; IeeeMode: 1
; LDSByteSize: 0 bytes/workgroup (compile time only)
; SGPRBlocks: 0
; VGPRBlocks: 1
; NumSGPRsForWavesPerEU: 38
; NumVGPRsForWavesPerEU: 19
; NamedBarCnt: 0
; Occupancy: 16
; WaveLimiterHint : 1
; COMPUTE_PGM_RSRC2:SCRATCH_EN: 0
; COMPUTE_PGM_RSRC2:USER_SGPR: 2
; COMPUTE_PGM_RSRC2:TRAP_HANDLER: 0
; COMPUTE_PGM_RSRC2:TGID_X_EN: 1
; COMPUTE_PGM_RSRC2:TGID_Y_EN: 1
; COMPUTE_PGM_RSRC2:TGID_Z_EN: 1
; COMPUTE_PGM_RSRC2:TIDIG_COMP_CNT: 0
	.section	.text._ZL12soft_max_f32ILb1ELi1024ELi1024EfEvPKfPKT2_S1_Pf15soft_max_params,"axG",@progbits,_ZL12soft_max_f32ILb1ELi1024ELi1024EfEvPKfPKT2_S1_Pf15soft_max_params,comdat
	.globl	_ZL12soft_max_f32ILb1ELi1024ELi1024EfEvPKfPKT2_S1_Pf15soft_max_params ; -- Begin function _ZL12soft_max_f32ILb1ELi1024ELi1024EfEvPKfPKT2_S1_Pf15soft_max_params
	.p2align	8
	.type	_ZL12soft_max_f32ILb1ELi1024ELi1024EfEvPKfPKT2_S1_Pf15soft_max_params,@function
_ZL12soft_max_f32ILb1ELi1024ELi1024EfEvPKfPKT2_S1_Pf15soft_max_params: ; @_ZL12soft_max_f32ILb1ELi1024ELi1024EfEvPKfPKT2_S1_Pf15soft_max_params
; %bb.0:
	s_clause 0x1
	s_load_b256 s[4:11], s[0:1], 0x68
	s_load_b64 s[12:13], s[0:1], 0x88
	s_bfe_u32 s2, ttmp6, 0x40010
	s_and_b32 s3, ttmp7, 0xffff
	s_add_co_i32 s2, s2, 1
	s_bfe_u32 s14, ttmp6, 0x40004
	s_mul_i32 s2, s3, s2
	s_getreg_b32 s28, hwreg(HW_REG_IB_STS2, 6, 4)
	s_add_co_i32 s14, s14, s2
	s_cmp_eq_u32 s28, 0
	s_cselect_b32 s2, s3, s14
	s_mov_b32 s3, 0
	s_wait_kmcnt 0x0
	s_and_b64 s[14:15], s[10:11], 0xffffffff00000000
	s_delay_alu instid0(SALU_CYCLE_1)
	s_cmp_lg_u64 s[14:15], 0
	s_cbranch_scc0 .LBB16_10
; %bb.1:
	s_ashr_i32 s14, s11, 31
	s_mov_b32 s21, s3
	s_mov_b32 s15, s14
	;; [unrolled: 1-line block ×3, first 2 shown]
	s_add_nc_u64 s[16:17], s[10:11], s[14:15]
	s_delay_alu instid0(SALU_CYCLE_1) | instskip(NEXT) | instid1(SALU_CYCLE_1)
	s_xor_b64 s[14:15], s[16:17], s[14:15]
	s_cvt_f32_u32 s11, s14
	s_cvt_f32_u32 s16, s15
	s_sub_nc_u64 s[18:19], 0, s[14:15]
	s_delay_alu instid0(SALU_CYCLE_2) | instskip(NEXT) | instid1(SALU_CYCLE_3)
	s_fmamk_f32 s11, s16, 0x4f800000, s11
	v_s_rcp_f32 s11, s11
	s_delay_alu instid0(TRANS32_DEP_1) | instskip(NEXT) | instid1(SALU_CYCLE_3)
	s_mul_f32 s11, s11, 0x5f7ffffc
	s_mul_f32 s16, s11, 0x2f800000
	s_delay_alu instid0(SALU_CYCLE_3) | instskip(NEXT) | instid1(SALU_CYCLE_3)
	s_trunc_f32 s16, s16
	s_fmamk_f32 s11, s16, 0xcf800000, s11
	s_cvt_u32_f32 s17, s16
	s_delay_alu instid0(SALU_CYCLE_2) | instskip(NEXT) | instid1(SALU_CYCLE_3)
	s_cvt_u32_f32 s16, s11
	s_mul_u64 s[22:23], s[18:19], s[16:17]
	s_delay_alu instid0(SALU_CYCLE_1)
	s_mul_hi_u32 s27, s16, s23
	s_mul_i32 s26, s16, s23
	s_mul_hi_u32 s20, s16, s22
	s_mul_i32 s24, s17, s22
	s_add_nc_u64 s[20:21], s[20:21], s[26:27]
	s_mul_hi_u32 s11, s17, s22
	s_mul_hi_u32 s29, s17, s23
	s_add_co_u32 s20, s20, s24
	s_add_co_ci_u32 s24, s21, s11
	s_mul_i32 s22, s17, s23
	s_add_co_ci_u32 s23, s29, 0
	s_delay_alu instid0(SALU_CYCLE_1) | instskip(SKIP_3) | instid1(SALU_CYCLE_1)
	s_add_nc_u64 s[20:21], s[24:25], s[22:23]
	s_mov_b32 s23, s3
	s_add_co_u32 s16, s16, s20
	s_cselect_b32 s11, -1, 0
	s_cmp_lg_u32 s11, 0
	s_add_co_ci_u32 s17, s17, s21
	s_mov_b32 s21, s3
	s_mul_u64 s[18:19], s[18:19], s[16:17]
	s_delay_alu instid0(SALU_CYCLE_1)
	s_mul_hi_u32 s25, s16, s19
	s_mul_i32 s24, s16, s19
	s_mul_hi_u32 s20, s16, s18
	s_mul_i32 s22, s17, s18
	s_add_nc_u64 s[20:21], s[20:21], s[24:25]
	s_mul_hi_u32 s11, s17, s18
	s_mul_hi_u32 s26, s17, s19
	s_mul_i32 s18, s17, s19
	s_add_co_u32 s19, s20, s22
	s_add_co_ci_u32 s22, s21, s11
	s_add_co_ci_u32 s19, s26, 0
	s_add_nc_u64 s[20:21], s[2:3], 0
	s_add_nc_u64 s[18:19], s[22:23], s[18:19]
	s_delay_alu instid0(SALU_CYCLE_1) | instskip(SKIP_1) | instid1(SALU_CYCLE_1)
	s_add_co_u32 s11, s16, s18
	s_cselect_b32 s16, -1, 0
	s_cmp_lg_u32 s16, 0
	s_add_co_ci_u32 s18, s17, s19
	s_xor_b64 s[16:17], s[20:21], 0
	s_mov_b32 s19, s3
	s_mul_hi_u32 s21, s16, s18
	s_mul_i32 s20, s16, s18
	s_mul_hi_u32 s22, s16, s11
	s_mul_hi_u32 s25, s17, s11
	s_mul_i32 s11, s17, s11
	s_add_nc_u64 s[20:21], s[22:23], s[20:21]
	s_mul_hi_u32 s24, s17, s18
	s_add_co_u32 s11, s20, s11
	s_mul_i32 s22, s17, s18
	s_add_co_ci_u32 s18, s21, s25
	s_add_co_ci_u32 s23, s24, 0
	s_delay_alu instid0(SALU_CYCLE_1) | instskip(NEXT) | instid1(SALU_CYCLE_1)
	s_add_nc_u64 s[18:19], s[18:19], s[22:23]
	s_and_b64 s[20:21], s[18:19], 0xffffffff00000000
	s_delay_alu instid0(SALU_CYCLE_1) | instskip(NEXT) | instid1(SALU_CYCLE_1)
	s_or_b32 s20, s20, s18
	s_mul_u64 s[18:19], s[14:15], s[20:21]
	s_delay_alu instid0(SALU_CYCLE_1)
	s_sub_co_u32 s11, s16, s18
	s_cselect_b32 s16, -1, 0
	s_sub_co_i32 s18, s17, s19
	s_cmp_lg_u32 s16, 0
	s_sub_co_ci_u32 s18, s18, s15
	s_sub_co_u32 s20, s11, s14
	s_cselect_b32 s21, -1, 0
	s_delay_alu instid0(SALU_CYCLE_1) | instskip(SKIP_1) | instid1(SALU_CYCLE_1)
	s_cmp_lg_u32 s21, 0
	s_sub_co_ci_u32 s22, s18, 0
	s_cmp_ge_u32 s22, s15
	s_cselect_b32 s23, -1, 0
	s_cmp_ge_u32 s20, s14
	s_cselect_b32 s24, -1, 0
	s_cmp_eq_u32 s22, s15
	s_cselect_b32 s23, s24, s23
	s_cmp_lg_u32 s21, 0
	s_sub_co_ci_u32 s18, s18, s15
	s_sub_co_u32 s21, s20, s14
	s_cselect_b32 s24, -1, 0
	s_delay_alu instid0(SALU_CYCLE_1)
	s_cmp_lg_u32 s24, 0
	s_sub_co_ci_u32 s18, s18, 0
	s_cmp_lg_u32 s23, 0
	s_cselect_b32 s20, s21, s20
	s_cselect_b32 s18, s18, s22
	s_cmp_lg_u32 s16, 0
	s_sub_co_ci_u32 s16, s17, s19
	s_delay_alu instid0(SALU_CYCLE_1)
	s_cmp_ge_u32 s16, s15
	s_cselect_b32 s17, -1, 0
	s_cmp_ge_u32 s11, s14
	s_cselect_b32 s14, -1, 0
	s_cmp_eq_u32 s16, s15
	s_cselect_b32 s14, s14, s17
	s_delay_alu instid0(SALU_CYCLE_1) | instskip(SKIP_2) | instid1(SALU_CYCLE_1)
	s_cmp_lg_u32 s14, 0
	s_cselect_b32 s15, s18, s16
	s_cselect_b32 s14, s20, s11
	s_xor_b64 s[14:15], s[14:15], 0
	s_delay_alu instid0(SALU_CYCLE_1)
	s_sub_nc_u64 s[20:21], s[14:15], 0
	s_and_not1_b32 vcc_lo, exec_lo, s3
	s_cbranch_vccnz .LBB16_3
.LBB16_2:
	v_cvt_f32_u32_e32 v1, s10
	s_sub_co_i32 s11, 0, s10
	s_mov_b32 s21, 0
	s_delay_alu instid0(VALU_DEP_1) | instskip(SKIP_1) | instid1(TRANS32_DEP_1)
	v_rcp_iflag_f32_e32 v1, v1
	v_nop
	v_mul_f32_e32 v1, 0x4f7ffffe, v1
	s_delay_alu instid0(VALU_DEP_1) | instskip(NEXT) | instid1(VALU_DEP_1)
	v_cvt_u32_f32_e32 v1, v1
	v_readfirstlane_b32 s3, v1
	s_mul_i32 s11, s11, s3
	s_delay_alu instid0(SALU_CYCLE_1) | instskip(NEXT) | instid1(SALU_CYCLE_1)
	s_mul_hi_u32 s11, s3, s11
	s_add_co_i32 s3, s3, s11
	s_delay_alu instid0(SALU_CYCLE_1) | instskip(NEXT) | instid1(SALU_CYCLE_1)
	s_mul_hi_u32 s3, s2, s3
	s_mul_i32 s3, s3, s10
	s_delay_alu instid0(SALU_CYCLE_1) | instskip(NEXT) | instid1(SALU_CYCLE_1)
	s_sub_co_i32 s3, s2, s3
	s_sub_co_i32 s11, s3, s10
	s_cmp_ge_u32 s3, s10
	s_cselect_b32 s3, s11, s3
	s_delay_alu instid0(SALU_CYCLE_1)
	s_sub_co_i32 s11, s3, s10
	s_cmp_ge_u32 s3, s10
	s_cselect_b32 s20, s11, s3
.LBB16_3:
	s_load_b64 s[10:11], s[0:1], 0x90
	s_bfe_u32 s3, ttmp6, 0x40014
	s_lshr_b32 s14, ttmp7, 16
	s_add_co_i32 s3, s3, 1
	s_bfe_u32 s15, ttmp6, 0x40008
	s_mul_i32 s3, s14, s3
	s_mov_b32 s23, 0
	s_add_co_i32 s15, s15, s3
	s_cmp_eq_u32 s28, 0
	s_cselect_b32 s22, s14, s15
	s_and_b64 s[14:15], s[12:13], 0xffffffff00000000
	s_delay_alu instid0(SALU_CYCLE_1)
	s_cmp_lg_u64 s[14:15], 0
	s_cbranch_scc0 .LBB16_11
; %bb.4:
	s_ashr_i32 s14, s13, 31
	s_mov_b32 s25, s23
	s_mov_b32 s15, s14
	;; [unrolled: 1-line block ×3, first 2 shown]
	s_add_nc_u64 s[16:17], s[12:13], s[14:15]
	s_delay_alu instid0(SALU_CYCLE_1) | instskip(NEXT) | instid1(SALU_CYCLE_1)
	s_xor_b64 s[14:15], s[16:17], s[14:15]
	s_cvt_f32_u32 s3, s14
	s_cvt_f32_u32 s13, s15
	s_sub_nc_u64 s[18:19], 0, s[14:15]
	s_delay_alu instid0(SALU_CYCLE_2) | instskip(NEXT) | instid1(SALU_CYCLE_3)
	s_fmamk_f32 s3, s13, 0x4f800000, s3
	v_s_rcp_f32 s3, s3
	s_delay_alu instid0(TRANS32_DEP_1) | instskip(NEXT) | instid1(SALU_CYCLE_3)
	s_mul_f32 s3, s3, 0x5f7ffffc
	s_mul_f32 s13, s3, 0x2f800000
	s_delay_alu instid0(SALU_CYCLE_3) | instskip(NEXT) | instid1(SALU_CYCLE_3)
	s_trunc_f32 s13, s13
	s_fmamk_f32 s3, s13, 0xcf800000, s3
	s_cvt_u32_f32 s17, s13
	s_delay_alu instid0(SALU_CYCLE_2) | instskip(NEXT) | instid1(SALU_CYCLE_3)
	s_cvt_u32_f32 s16, s3
	s_mul_u64 s[26:27], s[18:19], s[16:17]
	s_delay_alu instid0(SALU_CYCLE_1)
	s_mul_hi_u32 s35, s16, s27
	s_mul_i32 s34, s16, s27
	s_mul_hi_u32 s24, s16, s26
	s_mul_i32 s13, s17, s26
	s_add_nc_u64 s[24:25], s[24:25], s[34:35]
	s_mul_hi_u32 s3, s17, s26
	s_mul_hi_u32 s29, s17, s27
	s_add_co_u32 s13, s24, s13
	s_add_co_ci_u32 s30, s25, s3
	s_mul_i32 s26, s17, s27
	s_add_co_ci_u32 s27, s29, 0
	s_delay_alu instid0(SALU_CYCLE_1) | instskip(SKIP_3) | instid1(SALU_CYCLE_1)
	s_add_nc_u64 s[24:25], s[30:31], s[26:27]
	s_mov_b32 s27, s23
	s_add_co_u32 s16, s16, s24
	s_cselect_b32 s3, -1, 0
	s_cmp_lg_u32 s3, 0
	s_add_co_ci_u32 s17, s17, s25
	s_mov_b32 s25, s23
	s_mul_u64 s[18:19], s[18:19], s[16:17]
	s_delay_alu instid0(SALU_CYCLE_1)
	s_mul_hi_u32 s31, s16, s19
	s_mul_i32 s30, s16, s19
	s_mul_hi_u32 s24, s16, s18
	s_mul_i32 s13, s17, s18
	s_add_nc_u64 s[24:25], s[24:25], s[30:31]
	s_mul_hi_u32 s3, s17, s18
	s_mul_hi_u32 s29, s17, s19
	s_add_co_u32 s13, s24, s13
	s_add_co_ci_u32 s26, s25, s3
	s_mul_i32 s18, s17, s19
	s_add_co_ci_u32 s19, s29, 0
	s_add_nc_u64 s[24:25], s[22:23], 0
	s_add_nc_u64 s[18:19], s[26:27], s[18:19]
	s_delay_alu instid0(SALU_CYCLE_1) | instskip(SKIP_1) | instid1(SALU_CYCLE_1)
	s_add_co_u32 s3, s16, s18
	s_cselect_b32 s13, -1, 0
	s_cmp_lg_u32 s13, 0
	s_add_co_ci_u32 s13, s17, s19
	s_xor_b64 s[16:17], s[24:25], 0
	s_mov_b32 s19, s23
	s_mul_hi_u32 s25, s16, s13
	s_mul_i32 s24, s16, s13
	s_mul_hi_u32 s26, s16, s3
	s_mul_hi_u32 s18, s17, s3
	s_mul_i32 s3, s17, s3
	s_add_nc_u64 s[24:25], s[26:27], s[24:25]
	s_mul_hi_u32 s29, s17, s13
	s_add_co_u32 s3, s24, s3
	s_add_co_ci_u32 s18, s25, s18
	s_mul_i32 s26, s17, s13
	s_add_co_ci_u32 s27, s29, 0
	s_delay_alu instid0(SALU_CYCLE_1) | instskip(NEXT) | instid1(SALU_CYCLE_1)
	s_add_nc_u64 s[18:19], s[18:19], s[26:27]
	s_and_b64 s[24:25], s[18:19], 0xffffffff00000000
	s_delay_alu instid0(SALU_CYCLE_1) | instskip(NEXT) | instid1(SALU_CYCLE_1)
	s_or_b32 s24, s24, s18
	s_mul_u64 s[18:19], s[14:15], s[24:25]
	s_delay_alu instid0(SALU_CYCLE_1)
	s_sub_co_u32 s3, s16, s18
	s_cselect_b32 s13, -1, 0
	s_sub_co_i32 s16, s17, s19
	s_cmp_lg_u32 s13, 0
	s_sub_co_ci_u32 s16, s16, s15
	s_sub_co_u32 s18, s3, s14
	s_cselect_b32 s24, -1, 0
	s_delay_alu instid0(SALU_CYCLE_1) | instskip(SKIP_1) | instid1(SALU_CYCLE_1)
	s_cmp_lg_u32 s24, 0
	s_sub_co_ci_u32 s25, s16, 0
	s_cmp_ge_u32 s25, s15
	s_cselect_b32 s26, -1, 0
	s_cmp_ge_u32 s18, s14
	s_cselect_b32 s27, -1, 0
	s_cmp_eq_u32 s25, s15
	s_cselect_b32 s26, s27, s26
	s_cmp_lg_u32 s24, 0
	s_sub_co_ci_u32 s16, s16, s15
	s_sub_co_u32 s24, s18, s14
	s_cselect_b32 s27, -1, 0
	s_delay_alu instid0(SALU_CYCLE_1)
	s_cmp_lg_u32 s27, 0
	s_sub_co_ci_u32 s16, s16, 0
	s_cmp_lg_u32 s26, 0
	s_cselect_b32 s18, s24, s18
	s_cselect_b32 s16, s16, s25
	s_cmp_lg_u32 s13, 0
	s_sub_co_ci_u32 s13, s17, s19
	s_delay_alu instid0(SALU_CYCLE_1)
	s_cmp_ge_u32 s13, s15
	s_cselect_b32 s17, -1, 0
	s_cmp_ge_u32 s3, s14
	s_cselect_b32 s14, -1, 0
	s_cmp_eq_u32 s13, s15
	s_cselect_b32 s14, s14, s17
	s_delay_alu instid0(SALU_CYCLE_1) | instskip(SKIP_2) | instid1(SALU_CYCLE_1)
	s_cmp_lg_u32 s14, 0
	s_cselect_b32 s15, s16, s13
	s_cselect_b32 s14, s18, s3
	s_xor_b64 s[14:15], s[14:15], 0
	s_delay_alu instid0(SALU_CYCLE_1)
	s_sub_nc_u64 s[24:25], s[14:15], 0
	s_and_not1_b32 vcc_lo, exec_lo, s23
	s_cbranch_vccnz .LBB16_6
.LBB16_5:
	v_cvt_f32_u32_e32 v1, s12
	s_sub_co_i32 s13, 0, s12
	s_mov_b32 s25, 0
	s_delay_alu instid0(VALU_DEP_1) | instskip(SKIP_1) | instid1(TRANS32_DEP_1)
	v_rcp_iflag_f32_e32 v1, v1
	v_nop
	v_mul_f32_e32 v1, 0x4f7ffffe, v1
	s_delay_alu instid0(VALU_DEP_1) | instskip(NEXT) | instid1(VALU_DEP_1)
	v_cvt_u32_f32_e32 v1, v1
	v_readfirstlane_b32 s3, v1
	s_mul_i32 s13, s13, s3
	s_delay_alu instid0(SALU_CYCLE_1) | instskip(NEXT) | instid1(SALU_CYCLE_1)
	s_mul_hi_u32 s13, s3, s13
	s_add_co_i32 s3, s3, s13
	s_delay_alu instid0(SALU_CYCLE_1) | instskip(NEXT) | instid1(SALU_CYCLE_1)
	s_mul_hi_u32 s3, s22, s3
	s_mul_i32 s3, s3, s12
	s_delay_alu instid0(SALU_CYCLE_1) | instskip(NEXT) | instid1(SALU_CYCLE_1)
	s_sub_co_i32 s3, s22, s3
	s_sub_co_i32 s13, s3, s12
	s_cmp_ge_u32 s3, s12
	s_cselect_b32 s3, s13, s3
	s_delay_alu instid0(SALU_CYCLE_1)
	s_sub_co_i32 s13, s3, s12
	s_cmp_ge_u32 s3, s12
	s_cselect_b32 s24, s13, s3
.LBB16_6:
	s_load_b64 s[26:27], s[0:1], 0xa0
	v_mov_b32_e32 v1, 1.0
	s_wait_kmcnt 0x0
	s_cmp_le_f32 s11, 0
	s_cbranch_scc1 .LBB16_8
; %bb.7:
	s_clause 0x1
	s_load_b32 s3, s[0:1], 0x28
	s_load_b64 s[12:13], s[0:1], 0x98
	s_add_co_i32 s14, s2, 1
	s_wait_kmcnt 0x0
	s_sub_co_i32 s11, s2, s3
	s_delay_alu instid0(SALU_CYCLE_1) | instskip(NEXT) | instid1(SALU_CYCLE_1)
	s_lshl_b32 s11, s11, 1
	s_or_b32 s11, s11, 1
	s_cmp_lt_u32 s2, s3
	s_cselect_b32 s3, s14, s11
	s_cselect_b32 s12, s12, s13
	s_cvt_f32_i32 s3, s3
	s_cmp_neq_f32 s12, 1.0
	s_delay_alu instid0(SALU_CYCLE_2) | instskip(NEXT) | instid1(SALU_CYCLE_1)
	s_cselect_b32 s11, s3, 1.0
	s_cmp_neq_f32 s11, 0
	s_cselect_b32 s3, s12, 1.0
	s_delay_alu instid0(SALU_CYCLE_1) | instskip(NEXT) | instid1(VALU_DEP_1)
	v_cvt_f64_f32_e64 v[2:3], |s3|
	v_frexp_exp_i32_f64_e32 v1, v[2:3]
	v_frexp_mant_f32_e64 v2, |s3|
	s_delay_alu instid0(VALU_DEP_1) | instskip(SKIP_2) | instid1(SALU_CYCLE_1)
	v_readfirstlane_b32 s12, v2
	s_cmp_lt_f32 s12, 0x3f2aaaab
	s_cselect_b32 vcc_lo, -1, 0
	s_and_b32 s13, vcc_lo, exec_lo
	s_cselect_b32 s13, 2.0, 1.0
	s_delay_alu instid0(SALU_CYCLE_1) | instskip(NEXT) | instid1(SALU_CYCLE_3)
	s_mul_f32 s12, s12, s13
	s_add_f32 s13, s12, 1.0
	s_add_f32 s15, s12, -1.0
	s_delay_alu instid0(SALU_CYCLE_2) | instskip(SKIP_2) | instid1(SALU_CYCLE_2)
	v_s_rcp_f32 s14, s13
	s_add_f32 s18, s13, -1.0
	v_subrev_co_ci_u32_e64 v1, null, 0, v1, vcc_lo
	s_sub_f32 s12, s12, s18
	s_delay_alu instid0(TRANS32_DEP_1) | instskip(SKIP_1) | instid1(SALU_CYCLE_2)
	s_mul_f32 s16, s15, s14
	v_cvt_f32_i32_e32 v1, v1
	s_mul_f32 s17, s13, s16
	s_delay_alu instid0(SALU_CYCLE_3) | instskip(SKIP_1) | instid1(SALU_CYCLE_1)
	v_dual_mov_b32 v3, s15 :: v_dual_mov_b32 v4, s17
	s_xor_b32 s19, s17, 0x80000000
	s_fmac_f32 s19, s16, s13
	s_delay_alu instid0(SALU_CYCLE_3) | instskip(NEXT) | instid1(SALU_CYCLE_3)
	s_fmac_f32 s19, s16, s12
	s_add_f32 s12, s17, s19
	v_mov_b32_e32 v6, s19
	s_mov_b32 s17, 0x3e76c4e1
	s_delay_alu instid0(SALU_CYCLE_1) | instskip(SKIP_1) | instid1(SALU_CYCLE_2)
	s_sub_f32 s13, s15, s12
	v_dual_mov_b32 v2, s12 :: v_dual_mov_b32 v7, s12
	v_mov_b32_e32 v5, s13
	s_delay_alu instid0(VALU_DEP_1) | instskip(NEXT) | instid1(VALU_DEP_1)
	v_pk_add_f32 v[2:3], v[2:3], v[4:5] neg_lo:[0,1] neg_hi:[0,1]
	v_pk_add_f32 v[2:3], v[2:3], v[6:7] neg_lo:[0,1] neg_hi:[0,1]
	s_delay_alu instid0(VALU_DEP_1) | instskip(NEXT) | instid1(VALU_DEP_2)
	v_readfirstlane_b32 s12, v3
	v_readfirstlane_b32 s15, v2
	s_add_f32 s12, s15, s12
	s_delay_alu instid0(SALU_CYCLE_3) | instskip(NEXT) | instid1(SALU_CYCLE_3)
	s_add_f32 s12, s13, s12
	s_mul_f32 s13, s14, s12
	s_delay_alu instid0(SALU_CYCLE_3) | instskip(NEXT) | instid1(SALU_CYCLE_3)
	s_add_f32 s12, s16, s13
	s_sub_f32 s14, s12, s16
	s_mul_f32 s15, s12, s12
	s_delay_alu instid0(SALU_CYCLE_2) | instskip(NEXT) | instid1(SALU_CYCLE_2)
	s_sub_f32 s16, s13, s14
	s_xor_b32 s13, s15, 0x80000000
	s_delay_alu instid0(SALU_CYCLE_1) | instskip(NEXT) | instid1(SALU_CYCLE_1)
	s_fmac_f32 s13, s12, s12
	s_add_f32 s14, s16, s16
	s_delay_alu instid0(SALU_CYCLE_3) | instskip(NEXT) | instid1(SALU_CYCLE_3)
	s_fmac_f32 s13, s12, s14
	s_add_f32 s14, s15, s13
	s_delay_alu instid0(SALU_CYCLE_3) | instskip(SKIP_1) | instid1(SALU_CYCLE_2)
	s_fmaak_f32 s17, s14, s17, 0x3e91f4c4
	s_sub_f32 s15, s14, s15
	s_fmaak_f32 s17, s14, s17, 0x3ecccdef
	s_delay_alu instid0(SALU_CYCLE_2) | instskip(NEXT) | instid1(SALU_CYCLE_2)
	s_sub_f32 s23, s13, s15
	s_mul_f32 s18, s14, s17
	s_delay_alu instid0(SALU_CYCLE_3) | instskip(NEXT) | instid1(SALU_CYCLE_1)
	s_xor_b32 s19, s18, 0x80000000
	s_fmac_f32 s19, s14, s17
	s_delay_alu instid0(SALU_CYCLE_3) | instskip(NEXT) | instid1(SALU_CYCLE_3)
	s_fmac_f32 s19, s23, s17
	s_add_f32 s15, s18, s19
	s_delay_alu instid0(SALU_CYCLE_3) | instskip(SKIP_1) | instid1(SALU_CYCLE_2)
	s_sub_f32 s13, s15, s18
	s_add_f32 s17, s15, 0x3f2aaaaa
	s_sub_f32 s13, s19, s13
	s_delay_alu instid0(SALU_CYCLE_2) | instskip(NEXT) | instid1(SALU_CYCLE_2)
	s_add_f32 s18, s17, 0xbf2aaaaa
	s_add_f32 s13, s13, 0x31739010
	s_delay_alu instid0(SALU_CYCLE_2) | instskip(NEXT) | instid1(SALU_CYCLE_2)
	s_sub_f32 s15, s15, s18
	v_mov_b64_e32 v[2:3], s[12:13]
	s_delay_alu instid0(SALU_CYCLE_2) | instskip(NEXT) | instid1(VALU_DEP_1)
	v_mov_b64_e32 v[4:5], s[14:15]
	v_pk_mul_f32 v[6:7], v[2:3], v[4:5]
	v_pk_add_f32 v[2:3], v[2:3], v[4:5]
	v_mov_b32_e32 v9, s17
	s_delay_alu instid0(VALU_DEP_3) | instskip(NEXT) | instid1(VALU_DEP_3)
	v_xor_b32_e32 v8, 0x80000000, v6
	v_mov_b32_e32 v7, v3
	s_delay_alu instid0(VALU_DEP_2) | instskip(NEXT) | instid1(VALU_DEP_1)
	v_fmac_f32_e64 v8, s14, s12
	v_fmac_f32_e64 v8, s14, s16
	s_delay_alu instid0(VALU_DEP_1) | instskip(NEXT) | instid1(VALU_DEP_1)
	v_fmac_f32_e64 v8, s23, s12
	v_pk_add_f32 v[4:5], v[6:7], v[8:9]
	s_delay_alu instid0(VALU_DEP_1) | instskip(SKIP_1) | instid1(VALU_DEP_2)
	v_dual_mov_b32 v2, v5 :: v_dual_sub_f32 v7, s17, v5
	v_mul_f32_e32 v12, 0x3f317218, v1
	v_pk_mul_f32 v[10:11], v[4:5], v[2:3]
	s_delay_alu instid0(VALU_DEP_3) | instskip(NEXT) | instid1(VALU_DEP_3)
	v_add_f32_e32 v3, v3, v7
	v_xor_b32_e32 v7, 0x80000000, v12
	s_delay_alu instid0(VALU_DEP_3) | instskip(NEXT) | instid1(VALU_DEP_2)
	v_xor_b32_e32 v2, 0x80000000, v10
	v_dual_sub_f32 v6, v4, v6 :: v_dual_fmac_f32 v7, 0x3f317218, v1
	s_delay_alu instid0(VALU_DEP_2) | instskip(NEXT) | instid1(VALU_DEP_2)
	v_fmac_f32_e32 v2, v4, v5
	v_sub_f32_e32 v6, v8, v6
	s_delay_alu instid0(VALU_DEP_2) | instskip(NEXT) | instid1(VALU_DEP_1)
	v_fmac_f32_e32 v2, v4, v3
	v_fmac_f32_e32 v2, v6, v5
	v_fmamk_f32 v4, v1, 0xb102e308, v7
	v_ldexp_f32 v5, s12, 1
	v_ldexp_f32 v1, s16, 1
	s_delay_alu instid0(VALU_DEP_2) | instskip(NEXT) | instid1(VALU_DEP_1)
	v_dual_add_f32 v13, v10, v2 :: v_dual_mov_b32 v11, v5
	v_pk_add_f32 v[6:7], v[12:13], v[4:5]
	v_dual_mov_b32 v8, v13 :: v_dual_mov_b32 v3, v13
	s_delay_alu instid0(VALU_DEP_2) | instskip(SKIP_1) | instid1(VALU_DEP_2)
	v_dual_mov_b32 v9, v7 :: v_dual_mov_b32 v5, v6
	v_mov_b32_e32 v14, v7
	v_pk_add_f32 v[8:9], v[8:9], v[10:11] neg_lo:[0,1] neg_hi:[0,1]
	s_delay_alu instid0(VALU_DEP_1) | instskip(NEXT) | instid1(VALU_DEP_1)
	v_pk_add_f32 v[2:3], v[2:3], v[8:9] neg_lo:[0,1] neg_hi:[0,1]
	v_add_f32_e32 v1, v1, v2
	s_delay_alu instid0(VALU_DEP_1) | instskip(NEXT) | instid1(VALU_DEP_1)
	v_add_f32_e32 v13, v1, v3
	v_pk_add_f32 v[2:3], v[6:7], v[12:13]
	v_pk_add_f32 v[8:9], v[6:7], v[12:13] neg_lo:[0,1] neg_hi:[0,1]
	s_delay_alu instid0(VALU_DEP_2) | instskip(NEXT) | instid1(VALU_DEP_1)
	v_mov_b32_e32 v9, v3
	v_pk_add_f32 v[10:11], v[4:5], v[8:9]
	v_pk_add_f32 v[4:5], v[4:5], v[8:9] neg_lo:[0,1] neg_hi:[0,1]
	v_dual_mov_b32 v16, v3 :: v_dual_mov_b32 v5, v6
	s_delay_alu instid0(VALU_DEP_3) | instskip(NEXT) | instid1(VALU_DEP_3)
	v_dual_mov_b32 v12, v11 :: v_dual_mov_b32 v17, v11
	v_readfirstlane_b32 s12, v4
	s_delay_alu instid0(VALU_DEP_2) | instskip(NEXT) | instid1(VALU_DEP_2)
	v_pk_add_f32 v[8:9], v[12:13], v[6:7] neg_lo:[0,1] neg_hi:[0,1]
	v_dual_mov_b32 v4, v13 :: v_dual_mov_b32 v10, s12
	s_delay_alu instid0(VALU_DEP_2) | instskip(NEXT) | instid1(VALU_DEP_1)
	v_dual_mov_b32 v15, v8 :: v_dual_mov_b32 v1, v8
	v_pk_add_f32 v[6:7], v[16:17], v[14:15] neg_lo:[0,1] neg_hi:[0,1]
	s_delay_alu instid0(VALU_DEP_2) | instskip(SKIP_1) | instid1(VALU_DEP_3)
	v_pk_add_f32 v[2:3], v[2:3], v[0:1] neg_lo:[0,1] neg_hi:[0,1]
	v_mov_b32_e32 v2, s12
	v_pk_add_f32 v[4:5], v[4:5], v[6:7] neg_lo:[0,1] neg_hi:[0,1]
	s_delay_alu instid0(VALU_DEP_1) | instskip(NEXT) | instid1(VALU_DEP_1)
	v_pk_add_f32 v[2:3], v[2:3], v[4:5]
	v_readfirstlane_b32 s13, v2
	s_delay_alu instid0(VALU_DEP_2) | instskip(NEXT) | instid1(VALU_DEP_1)
	v_mov_b32_e32 v6, v3
	v_pk_add_f32 v[6:7], v[2:3], v[6:7]
	s_delay_alu instid0(VALU_DEP_3) | instskip(NEXT) | instid1(VALU_DEP_2)
	v_mov_b32_e32 v2, s13
	v_pk_add_f32 v[8:9], v[12:13], v[6:7]
	v_mov_b32_e32 v5, v6
	s_delay_alu instid0(VALU_DEP_2) | instskip(NEXT) | instid1(VALU_DEP_1)
	v_readfirstlane_b32 s14, v8
	v_mov_b32_e32 v3, s14
	s_delay_alu instid0(VALU_DEP_1) | instskip(NEXT) | instid1(VALU_DEP_1)
	v_pk_add_f32 v[2:3], v[2:3], v[10:11] neg_lo:[0,1] neg_hi:[0,1]
	v_readfirstlane_b32 s15, v2
	s_delay_alu instid0(VALU_DEP_2) | instskip(SKIP_1) | instid1(VALU_DEP_1)
	v_pk_add_f32 v[2:3], v[4:5], v[2:3] neg_lo:[0,1] neg_hi:[0,1]
	s_sub_f32 s13, s13, s15
	v_readfirstlane_b32 s15, v2
	s_delay_alu instid0(SALU_CYCLE_2) | instskip(SKIP_1) | instid1(SALU_CYCLE_2)
	s_sub_f32 s12, s12, s13
	v_readfirstlane_b32 s13, v3
	s_add_f32 s12, s15, s12
	s_delay_alu instid0(SALU_CYCLE_3) | instskip(NEXT) | instid1(SALU_CYCLE_3)
	s_add_f32 s12, s12, s13
	s_add_f32 s13, s14, s12
	s_delay_alu instid0(SALU_CYCLE_3) | instskip(SKIP_1) | instid1(SALU_CYCLE_2)
	s_mul_f32 s15, s11, s13
	s_sub_f32 s14, s13, s14
	s_xor_b32 s16, s15, 0x80000000
	s_delay_alu instid0(SALU_CYCLE_2) | instskip(SKIP_1) | instid1(SALU_CYCLE_3)
	s_sub_f32 s12, s12, s14
	s_fmac_f32 s16, s11, s13
	s_fmac_f32 s16, s11, s12
	v_cmp_class_f32_e64 s12, s15, 0x204
	s_delay_alu instid0(SALU_CYCLE_2) | instskip(SKIP_1) | instid1(SALU_CYCLE_2)
	s_add_f32 s13, s15, s16
	s_and_b32 s12, s12, exec_lo
	s_sub_f32 s12, s13, s15
	s_cselect_b32 s13, s15, s13
	s_delay_alu instid0(SALU_CYCLE_1) | instskip(NEXT) | instid1(SALU_CYCLE_1)
	s_and_b32 s14, s13, 0x7fffffff
	s_sub_f32 s12, s16, s12
	s_cmp_neq_f32 s14, 0x7f800000
	s_delay_alu instid0(SALU_CYCLE_2) | instskip(SKIP_2) | instid1(SALU_CYCLE_1)
	s_cselect_b32 s12, s12, 0
	s_cmp_eq_f32 s13, 0x42b17218
	s_cselect_b32 s14, 0x37000000, 0
	s_sub_f32 s13, s13, s14
	s_add_f32 s12, s14, s12
	s_delay_alu instid0(SALU_CYCLE_2) | instskip(NEXT) | instid1(SALU_CYCLE_3)
	s_mul_f32 s15, s13, 0x3fb8aa3b
	s_xor_b32 s16, s15, 0x80000000
	s_rndne_f32 s17, s15
	s_fmamk_f32 s16, s13, 0x3fb8aa3b, s16
	s_cmp_nlt_f32 s13, 0xc2ce8ed0
	s_delay_alu instid0(SALU_CYCLE_1) | instskip(NEXT) | instid1(SALU_CYCLE_1)
	s_sub_f32 s15, s15, s17
	s_fmamk_f32 s16, s13, 0x32a5705f, s16
	s_cselect_b32 vcc_lo, -1, 0
	s_cmp_ngt_f32 s13, 0x42b17218
	s_trunc_f32 s13, s11
	s_add_f32 s15, s15, s16
	s_cvt_i32_f32 s16, s17
	s_delay_alu instid0(SALU_CYCLE_2)
	v_s_exp_f32 s15, s15
	v_nop
	s_delay_alu instid0(TRANS32_DEP_1) | instid1(SALU_CYCLE_1)
	v_ldexp_f32 v1, s15, s16
	s_mul_f32 s15, s11, 0.5
	s_delay_alu instid0(VALU_DEP_1) | instskip(SKIP_3) | instid1(VALU_DEP_1)
	v_cndmask_b32_e32 v1, 0, v1, vcc_lo
	s_cselect_b32 vcc_lo, -1, 0
	s_cmp_eq_f32 s13, s11
	s_trunc_f32 s16, s15
	v_cndmask_b32_e32 v1, 0x7f800000, v1, vcc_lo
	s_cselect_b32 s17, -1, 0
	s_delay_alu instid0(SALU_CYCLE_1) | instskip(NEXT) | instid1(VALU_DEP_1)
	s_cmp_neq_f32 s16, s15
	v_fma_f32 v2, s12, v1, v1
	v_cmp_class_f32_e64 vcc_lo, v1, 0x204
	s_cselect_b32 s14, -1, 0
	s_delay_alu instid0(SALU_CYCLE_1)
	s_and_b32 s12, s17, s14
	v_cndmask_b32_e32 v1, v2, v1, vcc_lo
	s_and_b32 s14, s12, exec_lo
	s_cselect_b32 s14, s3, 1.0
	s_cmp_eq_f32 s13, s11
	v_cmp_class_f32_e64 s13, s3, 0x204
	v_bfi_b32 v1, 0x7fffffff, v1, s14
	s_cselect_b32 vcc_lo, -1, 0
	s_cmp_lt_f32 s3, 0
	s_delay_alu instid0(VALU_DEP_1) | instskip(SKIP_2) | instid1(VALU_DEP_1)
	v_cndmask_b32_e32 v2, 0x7fc00000, v1, vcc_lo
	s_cselect_b32 vcc_lo, -1, 0
	s_cmp_eq_f32 s3, 0
	v_cndmask_b32_e32 v1, v1, v2, vcc_lo
	s_cselect_b32 s14, -1, 0
	s_delay_alu instid0(SALU_CYCLE_1) | instskip(SKIP_2) | instid1(SALU_CYCLE_1)
	s_or_b32 vcc_lo, s14, s13
	s_cmp_lt_f32 s11, 0
	s_cselect_b32 s11, -1, 0
	s_xor_b32 s11, s11, s14
	s_delay_alu instid0(SALU_CYCLE_1)
	s_and_b32 s11, s11, exec_lo
	s_cselect_b32 s11, 0, 0x7f800000
	s_and_b32 s12, s12, exec_lo
	s_cselect_b32 s12, s3, 0
	s_cmp_o_f32 s3, s3
	v_mov_b32_e32 v2, s12
	s_delay_alu instid0(VALU_DEP_1) | instskip(NEXT) | instid1(VALU_DEP_1)
	v_bfi_b32 v2, 0x7fffffff, s11, v2
	v_cndmask_b32_e32 v1, v1, v2, vcc_lo
	s_cselect_b32 vcc_lo, -1, 0
	s_delay_alu instid0(VALU_DEP_1)
	v_cndmask_b32_e32 v1, 0x7fc00000, v1, vcc_lo
.LBB16_8:
	s_load_b256 s[12:19], s[0:1], 0x0
	s_wait_kmcnt 0x0
	s_cmp_lg_u64 s[16:17], 0
	s_cselect_b32 s3, -1, 0
	s_cmp_eq_u64 s[16:17], 0
	s_cbranch_scc1 .LBB16_12
; %bb.9:
	s_load_b32 s11, s[16:17], s2 offset:0x0 scale_offset
	s_branch .LBB16_13
.LBB16_10:
                                        ; implicit-def: $sgpr20_sgpr21
	s_branch .LBB16_2
.LBB16_11:
                                        ; implicit-def: $sgpr24_sgpr25
	s_branch .LBB16_5
.LBB16_12:
	s_mov_b32 s11, 0xff800000
.LBB16_13:
	s_bfe_u32 s0, ttmp6, 0x4000c
	s_and_b32 s1, ttmp6, 15
	s_add_co_i32 s0, s0, 1
	s_mul_i32 s22, s27, s22
	s_mul_i32 s0, ttmp9, s0
	v_mov_b32_e32 v8, 0
	s_add_co_i32 s1, s1, s0
	s_cmp_eq_u32 s28, 0
	s_cselect_b32 s0, ttmp9, s1
	s_add_co_i32 s1, s22, s2
	s_delay_alu instid0(SALU_CYCLE_1) | instskip(NEXT) | instid1(SALU_CYCLE_1)
	s_mul_i32 s1, s1, s26
	s_add_co_i32 s22, s1, s0
	s_mov_b32 s1, 0
	s_ashr_i32 s23, s22, 31
	s_delay_alu instid0(SALU_CYCLE_1)
	s_lshl_b64 s[26:27], s[22:23], 12
	s_cmp_eq_u64 s[14:15], 0
	s_add_nc_u64 s[12:13], s[12:13], s[26:27]
	global_load_b32 v2, v0, s[12:13] scale_offset
	s_wait_xcnt 0x0
	s_cselect_b32 s12, -1, 0
	s_cmp_lg_u64 s[14:15], 0
	s_cbranch_scc0 .LBB16_15
; %bb.14:
	s_mul_u64 s[0:1], s[4:5], s[0:1]
	s_mul_u64 s[4:5], s[20:21], s[6:7]
	;; [unrolled: 1-line block ×3, first 2 shown]
	s_add_nc_u64 s[0:1], s[4:5], s[0:1]
	s_delay_alu instid0(SALU_CYCLE_1) | instskip(NEXT) | instid1(SALU_CYCLE_1)
	s_add_nc_u64 s[0:1], s[0:1], s[6:7]
	s_lshr_b64 s[0:1], s[0:1], 2
	s_and_b32 s4, s12, exec_lo
	s_cselect_b32 s1, 0, s1
	s_cselect_b32 s0, 0, s0
	s_delay_alu instid0(SALU_CYCLE_1) | instskip(NEXT) | instid1(SALU_CYCLE_1)
	s_lshl_b64 s[0:1], s[0:1], 2
	s_add_nc_u64 s[0:1], s[14:15], s[0:1]
	global_load_b32 v3, v0, s[0:1] scale_offset
	s_wait_loadcnt 0x0
	v_mul_f32_e32 v8, v1, v3
.LBB16_15:
	v_mbcnt_lo_u32_b32 v1, -1, 0
	s_wait_loadcnt 0x0
	s_delay_alu instid0(VALU_DEP_2) | instskip(SKIP_3) | instid1(VALU_DEP_2)
	v_fmac_f32_e32 v8, s10, v2
	s_wait_kmcnt 0x0
	v_max_num_f32_e64 v2, s11, s11
	v_xor_b32_e32 v3, 16, v1
	v_dual_max_num_f32 v4, v2, v8 :: v_dual_bitop2_b32 v5, 8, v1 bitop3:0x14
	s_delay_alu instid0(VALU_DEP_2) | instskip(SKIP_1) | instid1(VALU_DEP_3)
	v_cmp_gt_i32_e32 vcc_lo, 32, v3
	v_cndmask_b32_e32 v3, v1, v3, vcc_lo
	v_cmp_gt_i32_e32 vcc_lo, 32, v5
	s_delay_alu instid0(VALU_DEP_2) | instskip(SKIP_3) | instid1(VALU_DEP_1)
	v_lshlrev_b32_e32 v2, 2, v3
	ds_bpermute_b32 v3, v2, v4
	s_wait_dscnt 0x0
	v_dual_cndmask_b32 v5, v1, v5 :: v_dual_max_num_f32 v6, v3, v3
	v_dual_lshlrev_b32 v3, 2, v5 :: v_dual_max_num_f32 v5, v4, v6
	ds_bpermute_b32 v4, v3, v5
	s_wait_dscnt 0x0
	v_dual_max_num_f32 v7, v4, v4 :: v_dual_bitop2_b32 v6, 4, v1 bitop3:0x14
	s_delay_alu instid0(VALU_DEP_1) | instskip(SKIP_1) | instid1(VALU_DEP_1)
	v_cmp_gt_i32_e32 vcc_lo, 32, v6
	v_cndmask_b32_e32 v6, v1, v6, vcc_lo
	v_dual_lshlrev_b32 v4, 2, v6 :: v_dual_max_num_f32 v6, v5, v7
	v_xor_b32_e32 v7, 2, v1
	ds_bpermute_b32 v5, v4, v6
	v_cmp_gt_i32_e32 vcc_lo, 32, v7
	s_wait_dscnt 0x0
	v_max_num_f32_e32 v9, v5, v5
	s_delay_alu instid0(VALU_DEP_1) | instskip(NEXT) | instid1(VALU_DEP_1)
	v_dual_cndmask_b32 v7, v1, v7 :: v_dual_max_num_f32 v6, v6, v9
	v_lshlrev_b32_e32 v5, 2, v7
	ds_bpermute_b32 v7, v5, v6
	s_wait_dscnt 0x0
	v_dual_max_num_f32 v7, v7, v7 :: v_dual_bitop2_b32 v9, 1, v1 bitop3:0x14
	s_delay_alu instid0(VALU_DEP_1) | instskip(NEXT) | instid1(VALU_DEP_2)
	v_cmp_gt_i32_e32 vcc_lo, 32, v9
	v_dual_max_num_f32 v10, v6, v7 :: v_dual_cndmask_b32 v1, v1, v9
	v_dual_lshrrev_b32 v7, 3, v0 :: v_dual_bitop2_b32 v9, 31, v0 bitop3:0x40
	s_delay_alu instid0(VALU_DEP_2) | instskip(SKIP_1) | instid1(VALU_DEP_3)
	v_lshlrev_b32_e32 v6, 2, v1
	v_lshl_add_u32 v1, v0, 2, 0
	v_cmp_eq_u32_e32 vcc_lo, 0, v9
	ds_bpermute_b32 v11, v6, v10
	ds_store_b32 v1, v8 offset:128
	s_and_saveexec_b32 s0, vcc_lo
	s_delay_alu instid0(SALU_CYCLE_1)
	s_xor_b32 s0, exec_lo, s0
	s_cbranch_execz .LBB16_17
; %bb.16:
	s_wait_dscnt 0x1
	v_dual_max_num_f32 v8, v11, v11 :: v_dual_max_num_f32 v10, v10, v10
	s_delay_alu instid0(VALU_DEP_1)
	v_dual_max_num_f32 v8, v10, v8 :: v_dual_add_nc_u32 v10, 0, v7
	ds_store_b32 v10, v8
.LBB16_17:
	s_or_b32 exec_lo, exec_lo, s0
	v_lshl_add_u32 v8, v9, 2, 0
	s_wait_dscnt 0x0
	s_barrier_signal -1
	s_barrier_wait -1
	ds_load_b32 v9, v8
	ds_load_b32 v10, v1 offset:128
	s_wait_dscnt 0x1
	ds_bpermute_b32 v11, v2, v9
	s_wait_dscnt 0x0
	v_dual_max_num_f32 v9, v9, v9 :: v_dual_max_num_f32 v11, v11, v11
	s_delay_alu instid0(VALU_DEP_1) | instskip(SKIP_3) | instid1(VALU_DEP_1)
	v_max_num_f32_e32 v9, v9, v11
	ds_bpermute_b32 v11, v3, v9
	s_wait_dscnt 0x0
	v_max_num_f32_e32 v11, v11, v11
	v_max_num_f32_e32 v9, v9, v11
	ds_bpermute_b32 v11, v4, v9
	s_wait_dscnt 0x0
	v_max_num_f32_e32 v11, v11, v11
	s_delay_alu instid0(VALU_DEP_1) | instskip(SKIP_3) | instid1(VALU_DEP_1)
	v_max_num_f32_e32 v9, v9, v11
	ds_bpermute_b32 v11, v5, v9
	s_wait_dscnt 0x0
	v_max_num_f32_e32 v11, v11, v11
	v_max_num_f32_e32 v9, v9, v11
	ds_bpermute_b32 v11, v6, v9
	s_wait_dscnt 0x0
	v_max_num_f32_e32 v11, v11, v11
	s_delay_alu instid0(VALU_DEP_1) | instskip(NEXT) | instid1(VALU_DEP_1)
	v_max_num_f32_e32 v9, v9, v11
	v_sub_f32_e32 v10, v10, v9
	s_delay_alu instid0(VALU_DEP_1) | instskip(NEXT) | instid1(VALU_DEP_1)
	v_mul_f32_e32 v11, 0x3fb8aa3b, v10
	v_fma_f32 v12, 0x3fb8aa3b, v10, -v11
	v_rndne_f32_e32 v13, v11
	s_delay_alu instid0(VALU_DEP_1) | instskip(NEXT) | instid1(VALU_DEP_1)
	v_dual_fmamk_f32 v12, v10, 0x32a5705f, v12 :: v_dual_sub_f32 v11, v11, v13
	v_add_f32_e32 v11, v11, v12
	v_cvt_i32_f32_e32 v12, v13
	v_cmp_ngt_f32_e64 s0, 0xc2ce8ed0, v10
	s_delay_alu instid0(VALU_DEP_3) | instskip(SKIP_1) | instid1(TRANS32_DEP_1)
	v_exp_f32_e32 v11, v11
	v_nop
	v_ldexp_f32 v11, v11, v12
	s_delay_alu instid0(VALU_DEP_1) | instskip(SKIP_1) | instid1(VALU_DEP_1)
	v_cndmask_b32_e64 v11, 0, v11, s0
	v_cmp_nlt_f32_e64 s0, 0x42b17218, v10
	v_cndmask_b32_e64 v12, 0x7f800000, v11, s0
	ds_bpermute_b32 v10, v2, v12
	ds_store_b32 v1, v12 offset:128
	s_wait_dscnt 0x1
	v_add_f32_e32 v10, v12, v10
	ds_bpermute_b32 v11, v3, v10
	s_wait_dscnt 0x0
	v_add_f32_e32 v10, v10, v11
	ds_bpermute_b32 v11, v4, v10
	;; [unrolled: 3-line block ×4, first 2 shown]
	s_and_saveexec_b32 s0, vcc_lo
	s_cbranch_execz .LBB16_19
; %bb.18:
	s_wait_dscnt 0x0
	v_add_f32_e32 v10, v10, v11
	v_add_nc_u32_e32 v7, 0, v7
	ds_store_b32 v7, v10
.LBB16_19:
	s_or_b32 exec_lo, exec_lo, s0
	s_wait_dscnt 0x0
	s_barrier_signal -1
	s_barrier_wait -1
	ds_load_b32 v7, v8
	s_and_not1_b32 vcc_lo, exec_lo, s3
	s_lshl_b64 s[0:1], s[22:23], 10
	s_wait_dscnt 0x0
	ds_bpermute_b32 v2, v2, v7
	s_wait_dscnt 0x0
	v_add_f32_e32 v2, v7, v2
	ds_bpermute_b32 v3, v3, v2
	s_wait_dscnt 0x0
	v_add_f32_e32 v2, v2, v3
	;; [unrolled: 3-line block ×5, first 2 shown]
	s_cbranch_vccnz .LBB16_21
; %bb.20:
	s_load_b32 s2, s[16:17], s2 offset:0x0 scale_offset
	s_wait_kmcnt 0x0
	v_sub_f32_e32 v3, s2, v9
	s_delay_alu instid0(VALU_DEP_1) | instskip(NEXT) | instid1(VALU_DEP_1)
	v_mul_f32_e32 v4, 0x3fb8aa3b, v3
	v_fma_f32 v5, 0x3fb8aa3b, v3, -v4
	v_rndne_f32_e32 v6, v4
	s_delay_alu instid0(VALU_DEP_1) | instskip(SKIP_1) | instid1(VALU_DEP_4)
	v_sub_f32_e32 v4, v4, v6
	v_cmp_ngt_f32_e32 vcc_lo, 0xc2ce8ed0, v3
	v_fmamk_f32 v5, v3, 0x32a5705f, v5
	s_delay_alu instid0(VALU_DEP_1) | instskip(SKIP_1) | instid1(VALU_DEP_2)
	v_add_f32_e32 v4, v4, v5
	v_cvt_i32_f32_e32 v5, v6
	v_exp_f32_e32 v4, v4
	v_nop
	s_delay_alu instid0(TRANS32_DEP_1) | instskip(NEXT) | instid1(VALU_DEP_1)
	v_ldexp_f32 v4, v4, v5
	v_cndmask_b32_e32 v4, 0, v4, vcc_lo
	v_cmp_nlt_f32_e32 vcc_lo, 0x42b17218, v3
	s_delay_alu instid0(VALU_DEP_2) | instskip(NEXT) | instid1(VALU_DEP_1)
	v_cndmask_b32_e32 v3, 0x7f800000, v4, vcc_lo
	v_add_f32_e32 v2, v2, v3
.LBB16_21:
	s_delay_alu instid0(VALU_DEP_1) | instskip(SKIP_4) | instid1(SALU_CYCLE_1)
	v_div_scale_f32 v3, null, v2, v2, 1.0
	v_div_scale_f32 v6, vcc_lo, 1.0, v2, 1.0
	ds_load_b32 v1, v1 offset:128
	v_rcp_f32_e32 v4, v3
	s_lshl_b64 s[0:1], s[0:1], 2
	s_add_nc_u64 s[0:1], s[18:19], s[0:1]
	v_nop
	s_delay_alu instid0(TRANS32_DEP_1) | instskip(NEXT) | instid1(VALU_DEP_1)
	v_fma_f32 v5, -v3, v4, 1.0
	v_fmac_f32_e32 v4, v5, v4
	s_delay_alu instid0(VALU_DEP_1) | instskip(NEXT) | instid1(VALU_DEP_1)
	v_mul_f32_e32 v5, v6, v4
	v_fma_f32 v7, -v3, v5, v6
	s_delay_alu instid0(VALU_DEP_1) | instskip(NEXT) | instid1(VALU_DEP_1)
	v_fmac_f32_e32 v5, v7, v4
	v_fma_f32 v3, -v3, v5, v6
	s_delay_alu instid0(VALU_DEP_1) | instskip(NEXT) | instid1(VALU_DEP_1)
	v_div_fmas_f32 v3, v3, v4, v5
	v_div_fixup_f32 v2, v3, v2, 1.0
	s_wait_dscnt 0x0
	s_delay_alu instid0(VALU_DEP_1)
	v_mul_f32_e32 v1, v2, v1
	global_store_b32 v0, v1, s[0:1] scale_offset
	s_endpgm
	.section	.rodata,"a",@progbits
	.p2align	6, 0x0
	.amdhsa_kernel _ZL12soft_max_f32ILb1ELi1024ELi1024EfEvPKfPKT2_S1_Pf15soft_max_params
		.amdhsa_group_segment_fixed_size 0
		.amdhsa_private_segment_fixed_size 0
		.amdhsa_kernarg_size 416
		.amdhsa_user_sgpr_count 2
		.amdhsa_user_sgpr_dispatch_ptr 0
		.amdhsa_user_sgpr_queue_ptr 0
		.amdhsa_user_sgpr_kernarg_segment_ptr 1
		.amdhsa_user_sgpr_dispatch_id 0
		.amdhsa_user_sgpr_kernarg_preload_length 0
		.amdhsa_user_sgpr_kernarg_preload_offset 0
		.amdhsa_user_sgpr_private_segment_size 0
		.amdhsa_wavefront_size32 1
		.amdhsa_uses_dynamic_stack 0
		.amdhsa_enable_private_segment 0
		.amdhsa_system_sgpr_workgroup_id_x 1
		.amdhsa_system_sgpr_workgroup_id_y 1
		.amdhsa_system_sgpr_workgroup_id_z 1
		.amdhsa_system_sgpr_workgroup_info 0
		.amdhsa_system_vgpr_workitem_id 0
		.amdhsa_next_free_vgpr 18
		.amdhsa_next_free_sgpr 36
		.amdhsa_named_barrier_count 0
		.amdhsa_reserve_vcc 1
		.amdhsa_float_round_mode_32 0
		.amdhsa_float_round_mode_16_64 0
		.amdhsa_float_denorm_mode_32 3
		.amdhsa_float_denorm_mode_16_64 3
		.amdhsa_fp16_overflow 0
		.amdhsa_memory_ordered 1
		.amdhsa_forward_progress 1
		.amdhsa_inst_pref_size 34
		.amdhsa_round_robin_scheduling 0
		.amdhsa_exception_fp_ieee_invalid_op 0
		.amdhsa_exception_fp_denorm_src 0
		.amdhsa_exception_fp_ieee_div_zero 0
		.amdhsa_exception_fp_ieee_overflow 0
		.amdhsa_exception_fp_ieee_underflow 0
		.amdhsa_exception_fp_ieee_inexact 0
		.amdhsa_exception_int_div_zero 0
	.end_amdhsa_kernel
	.section	.text._ZL12soft_max_f32ILb1ELi1024ELi1024EfEvPKfPKT2_S1_Pf15soft_max_params,"axG",@progbits,_ZL12soft_max_f32ILb1ELi1024ELi1024EfEvPKfPKT2_S1_Pf15soft_max_params,comdat
.Lfunc_end16:
	.size	_ZL12soft_max_f32ILb1ELi1024ELi1024EfEvPKfPKT2_S1_Pf15soft_max_params, .Lfunc_end16-_ZL12soft_max_f32ILb1ELi1024ELi1024EfEvPKfPKT2_S1_Pf15soft_max_params
                                        ; -- End function
	.set _ZL12soft_max_f32ILb1ELi1024ELi1024EfEvPKfPKT2_S1_Pf15soft_max_params.num_vgpr, 18
	.set _ZL12soft_max_f32ILb1ELi1024ELi1024EfEvPKfPKT2_S1_Pf15soft_max_params.num_agpr, 0
	.set _ZL12soft_max_f32ILb1ELi1024ELi1024EfEvPKfPKT2_S1_Pf15soft_max_params.numbered_sgpr, 36
	.set _ZL12soft_max_f32ILb1ELi1024ELi1024EfEvPKfPKT2_S1_Pf15soft_max_params.num_named_barrier, 0
	.set _ZL12soft_max_f32ILb1ELi1024ELi1024EfEvPKfPKT2_S1_Pf15soft_max_params.private_seg_size, 0
	.set _ZL12soft_max_f32ILb1ELi1024ELi1024EfEvPKfPKT2_S1_Pf15soft_max_params.uses_vcc, 1
	.set _ZL12soft_max_f32ILb1ELi1024ELi1024EfEvPKfPKT2_S1_Pf15soft_max_params.uses_flat_scratch, 0
	.set _ZL12soft_max_f32ILb1ELi1024ELi1024EfEvPKfPKT2_S1_Pf15soft_max_params.has_dyn_sized_stack, 0
	.set _ZL12soft_max_f32ILb1ELi1024ELi1024EfEvPKfPKT2_S1_Pf15soft_max_params.has_recursion, 0
	.set _ZL12soft_max_f32ILb1ELi1024ELi1024EfEvPKfPKT2_S1_Pf15soft_max_params.has_indirect_call, 0
	.section	.AMDGPU.csdata,"",@progbits
; Kernel info:
; codeLenInByte = 4344
; TotalNumSgprs: 38
; NumVgprs: 18
; ScratchSize: 0
; MemoryBound: 0
; FloatMode: 240
; IeeeMode: 1
; LDSByteSize: 0 bytes/workgroup (compile time only)
; SGPRBlocks: 0
; VGPRBlocks: 1
; NumSGPRsForWavesPerEU: 38
; NumVGPRsForWavesPerEU: 18
; NamedBarCnt: 0
; Occupancy: 16
; WaveLimiterHint : 1
; COMPUTE_PGM_RSRC2:SCRATCH_EN: 0
; COMPUTE_PGM_RSRC2:USER_SGPR: 2
; COMPUTE_PGM_RSRC2:TRAP_HANDLER: 0
; COMPUTE_PGM_RSRC2:TGID_X_EN: 1
; COMPUTE_PGM_RSRC2:TGID_Y_EN: 1
; COMPUTE_PGM_RSRC2:TGID_Z_EN: 1
; COMPUTE_PGM_RSRC2:TIDIG_COMP_CNT: 0
	.section	.text._ZL12soft_max_f32ILb1ELi512ELi512EfEvPKfPKT2_S1_Pf15soft_max_params,"axG",@progbits,_ZL12soft_max_f32ILb1ELi512ELi512EfEvPKfPKT2_S1_Pf15soft_max_params,comdat
	.globl	_ZL12soft_max_f32ILb1ELi512ELi512EfEvPKfPKT2_S1_Pf15soft_max_params ; -- Begin function _ZL12soft_max_f32ILb1ELi512ELi512EfEvPKfPKT2_S1_Pf15soft_max_params
	.p2align	8
	.type	_ZL12soft_max_f32ILb1ELi512ELi512EfEvPKfPKT2_S1_Pf15soft_max_params,@function
_ZL12soft_max_f32ILb1ELi512ELi512EfEvPKfPKT2_S1_Pf15soft_max_params: ; @_ZL12soft_max_f32ILb1ELi512ELi512EfEvPKfPKT2_S1_Pf15soft_max_params
; %bb.0:
	s_clause 0x1
	s_load_b256 s[4:11], s[0:1], 0x68
	s_load_b64 s[12:13], s[0:1], 0x88
	s_bfe_u32 s2, ttmp6, 0x40010
	s_and_b32 s3, ttmp7, 0xffff
	s_add_co_i32 s2, s2, 1
	s_bfe_u32 s14, ttmp6, 0x40004
	s_mul_i32 s2, s3, s2
	s_getreg_b32 s28, hwreg(HW_REG_IB_STS2, 6, 4)
	s_add_co_i32 s14, s14, s2
	s_cmp_eq_u32 s28, 0
	s_cselect_b32 s2, s3, s14
	s_mov_b32 s3, 0
	s_wait_kmcnt 0x0
	s_and_b64 s[14:15], s[10:11], 0xffffffff00000000
	s_delay_alu instid0(SALU_CYCLE_1)
	s_cmp_lg_u64 s[14:15], 0
	s_cbranch_scc0 .LBB17_10
; %bb.1:
	s_ashr_i32 s14, s11, 31
	s_mov_b32 s21, s3
	s_mov_b32 s15, s14
	;; [unrolled: 1-line block ×3, first 2 shown]
	s_add_nc_u64 s[16:17], s[10:11], s[14:15]
	s_delay_alu instid0(SALU_CYCLE_1) | instskip(NEXT) | instid1(SALU_CYCLE_1)
	s_xor_b64 s[14:15], s[16:17], s[14:15]
	s_cvt_f32_u32 s11, s14
	s_cvt_f32_u32 s16, s15
	s_sub_nc_u64 s[18:19], 0, s[14:15]
	s_delay_alu instid0(SALU_CYCLE_2) | instskip(NEXT) | instid1(SALU_CYCLE_3)
	s_fmamk_f32 s11, s16, 0x4f800000, s11
	v_s_rcp_f32 s11, s11
	s_delay_alu instid0(TRANS32_DEP_1) | instskip(NEXT) | instid1(SALU_CYCLE_3)
	s_mul_f32 s11, s11, 0x5f7ffffc
	s_mul_f32 s16, s11, 0x2f800000
	s_delay_alu instid0(SALU_CYCLE_3) | instskip(NEXT) | instid1(SALU_CYCLE_3)
	s_trunc_f32 s16, s16
	s_fmamk_f32 s11, s16, 0xcf800000, s11
	s_cvt_u32_f32 s17, s16
	s_delay_alu instid0(SALU_CYCLE_2) | instskip(NEXT) | instid1(SALU_CYCLE_3)
	s_cvt_u32_f32 s16, s11
	s_mul_u64 s[22:23], s[18:19], s[16:17]
	s_delay_alu instid0(SALU_CYCLE_1)
	s_mul_hi_u32 s27, s16, s23
	s_mul_i32 s26, s16, s23
	s_mul_hi_u32 s20, s16, s22
	s_mul_i32 s24, s17, s22
	s_add_nc_u64 s[20:21], s[20:21], s[26:27]
	s_mul_hi_u32 s11, s17, s22
	s_mul_hi_u32 s29, s17, s23
	s_add_co_u32 s20, s20, s24
	s_add_co_ci_u32 s24, s21, s11
	s_mul_i32 s22, s17, s23
	s_add_co_ci_u32 s23, s29, 0
	s_delay_alu instid0(SALU_CYCLE_1) | instskip(SKIP_3) | instid1(SALU_CYCLE_1)
	s_add_nc_u64 s[20:21], s[24:25], s[22:23]
	s_mov_b32 s23, s3
	s_add_co_u32 s16, s16, s20
	s_cselect_b32 s11, -1, 0
	s_cmp_lg_u32 s11, 0
	s_add_co_ci_u32 s17, s17, s21
	s_mov_b32 s21, s3
	s_mul_u64 s[18:19], s[18:19], s[16:17]
	s_delay_alu instid0(SALU_CYCLE_1)
	s_mul_hi_u32 s25, s16, s19
	s_mul_i32 s24, s16, s19
	s_mul_hi_u32 s20, s16, s18
	s_mul_i32 s22, s17, s18
	s_add_nc_u64 s[20:21], s[20:21], s[24:25]
	s_mul_hi_u32 s11, s17, s18
	s_mul_hi_u32 s26, s17, s19
	s_mul_i32 s18, s17, s19
	s_add_co_u32 s19, s20, s22
	s_add_co_ci_u32 s22, s21, s11
	s_add_co_ci_u32 s19, s26, 0
	s_add_nc_u64 s[20:21], s[2:3], 0
	s_add_nc_u64 s[18:19], s[22:23], s[18:19]
	s_delay_alu instid0(SALU_CYCLE_1) | instskip(SKIP_1) | instid1(SALU_CYCLE_1)
	s_add_co_u32 s11, s16, s18
	s_cselect_b32 s16, -1, 0
	s_cmp_lg_u32 s16, 0
	s_add_co_ci_u32 s18, s17, s19
	s_xor_b64 s[16:17], s[20:21], 0
	s_mov_b32 s19, s3
	s_mul_hi_u32 s21, s16, s18
	s_mul_i32 s20, s16, s18
	s_mul_hi_u32 s22, s16, s11
	s_mul_hi_u32 s25, s17, s11
	s_mul_i32 s11, s17, s11
	s_add_nc_u64 s[20:21], s[22:23], s[20:21]
	s_mul_hi_u32 s24, s17, s18
	s_add_co_u32 s11, s20, s11
	s_mul_i32 s22, s17, s18
	s_add_co_ci_u32 s18, s21, s25
	s_add_co_ci_u32 s23, s24, 0
	s_delay_alu instid0(SALU_CYCLE_1) | instskip(NEXT) | instid1(SALU_CYCLE_1)
	s_add_nc_u64 s[18:19], s[18:19], s[22:23]
	s_and_b64 s[20:21], s[18:19], 0xffffffff00000000
	s_delay_alu instid0(SALU_CYCLE_1) | instskip(NEXT) | instid1(SALU_CYCLE_1)
	s_or_b32 s20, s20, s18
	s_mul_u64 s[18:19], s[14:15], s[20:21]
	s_delay_alu instid0(SALU_CYCLE_1)
	s_sub_co_u32 s11, s16, s18
	s_cselect_b32 s16, -1, 0
	s_sub_co_i32 s18, s17, s19
	s_cmp_lg_u32 s16, 0
	s_sub_co_ci_u32 s18, s18, s15
	s_sub_co_u32 s20, s11, s14
	s_cselect_b32 s21, -1, 0
	s_delay_alu instid0(SALU_CYCLE_1) | instskip(SKIP_1) | instid1(SALU_CYCLE_1)
	s_cmp_lg_u32 s21, 0
	s_sub_co_ci_u32 s22, s18, 0
	s_cmp_ge_u32 s22, s15
	s_cselect_b32 s23, -1, 0
	s_cmp_ge_u32 s20, s14
	s_cselect_b32 s24, -1, 0
	s_cmp_eq_u32 s22, s15
	s_cselect_b32 s23, s24, s23
	s_cmp_lg_u32 s21, 0
	s_sub_co_ci_u32 s18, s18, s15
	s_sub_co_u32 s21, s20, s14
	s_cselect_b32 s24, -1, 0
	s_delay_alu instid0(SALU_CYCLE_1)
	s_cmp_lg_u32 s24, 0
	s_sub_co_ci_u32 s18, s18, 0
	s_cmp_lg_u32 s23, 0
	s_cselect_b32 s20, s21, s20
	s_cselect_b32 s18, s18, s22
	s_cmp_lg_u32 s16, 0
	s_sub_co_ci_u32 s16, s17, s19
	s_delay_alu instid0(SALU_CYCLE_1)
	s_cmp_ge_u32 s16, s15
	s_cselect_b32 s17, -1, 0
	s_cmp_ge_u32 s11, s14
	s_cselect_b32 s14, -1, 0
	s_cmp_eq_u32 s16, s15
	s_cselect_b32 s14, s14, s17
	s_delay_alu instid0(SALU_CYCLE_1) | instskip(SKIP_2) | instid1(SALU_CYCLE_1)
	s_cmp_lg_u32 s14, 0
	s_cselect_b32 s15, s18, s16
	s_cselect_b32 s14, s20, s11
	s_xor_b64 s[14:15], s[14:15], 0
	s_delay_alu instid0(SALU_CYCLE_1)
	s_sub_nc_u64 s[20:21], s[14:15], 0
	s_and_not1_b32 vcc_lo, exec_lo, s3
	s_cbranch_vccnz .LBB17_3
.LBB17_2:
	v_cvt_f32_u32_e32 v1, s10
	s_sub_co_i32 s11, 0, s10
	s_mov_b32 s21, 0
	s_delay_alu instid0(VALU_DEP_1) | instskip(SKIP_1) | instid1(TRANS32_DEP_1)
	v_rcp_iflag_f32_e32 v1, v1
	v_nop
	v_mul_f32_e32 v1, 0x4f7ffffe, v1
	s_delay_alu instid0(VALU_DEP_1) | instskip(NEXT) | instid1(VALU_DEP_1)
	v_cvt_u32_f32_e32 v1, v1
	v_readfirstlane_b32 s3, v1
	s_mul_i32 s11, s11, s3
	s_delay_alu instid0(SALU_CYCLE_1) | instskip(NEXT) | instid1(SALU_CYCLE_1)
	s_mul_hi_u32 s11, s3, s11
	s_add_co_i32 s3, s3, s11
	s_delay_alu instid0(SALU_CYCLE_1) | instskip(NEXT) | instid1(SALU_CYCLE_1)
	s_mul_hi_u32 s3, s2, s3
	s_mul_i32 s3, s3, s10
	s_delay_alu instid0(SALU_CYCLE_1) | instskip(NEXT) | instid1(SALU_CYCLE_1)
	s_sub_co_i32 s3, s2, s3
	s_sub_co_i32 s11, s3, s10
	s_cmp_ge_u32 s3, s10
	s_cselect_b32 s3, s11, s3
	s_delay_alu instid0(SALU_CYCLE_1)
	s_sub_co_i32 s11, s3, s10
	s_cmp_ge_u32 s3, s10
	s_cselect_b32 s20, s11, s3
.LBB17_3:
	s_load_b64 s[10:11], s[0:1], 0x90
	s_bfe_u32 s3, ttmp6, 0x40014
	s_lshr_b32 s14, ttmp7, 16
	s_add_co_i32 s3, s3, 1
	s_bfe_u32 s15, ttmp6, 0x40008
	s_mul_i32 s3, s14, s3
	s_mov_b32 s23, 0
	s_add_co_i32 s15, s15, s3
	s_cmp_eq_u32 s28, 0
	s_cselect_b32 s22, s14, s15
	s_and_b64 s[14:15], s[12:13], 0xffffffff00000000
	s_delay_alu instid0(SALU_CYCLE_1)
	s_cmp_lg_u64 s[14:15], 0
	s_cbranch_scc0 .LBB17_11
; %bb.4:
	s_ashr_i32 s14, s13, 31
	s_mov_b32 s25, s23
	s_mov_b32 s15, s14
	;; [unrolled: 1-line block ×3, first 2 shown]
	s_add_nc_u64 s[16:17], s[12:13], s[14:15]
	s_delay_alu instid0(SALU_CYCLE_1) | instskip(NEXT) | instid1(SALU_CYCLE_1)
	s_xor_b64 s[14:15], s[16:17], s[14:15]
	s_cvt_f32_u32 s3, s14
	s_cvt_f32_u32 s13, s15
	s_sub_nc_u64 s[18:19], 0, s[14:15]
	s_delay_alu instid0(SALU_CYCLE_2) | instskip(NEXT) | instid1(SALU_CYCLE_3)
	s_fmamk_f32 s3, s13, 0x4f800000, s3
	v_s_rcp_f32 s3, s3
	s_delay_alu instid0(TRANS32_DEP_1) | instskip(NEXT) | instid1(SALU_CYCLE_3)
	s_mul_f32 s3, s3, 0x5f7ffffc
	s_mul_f32 s13, s3, 0x2f800000
	s_delay_alu instid0(SALU_CYCLE_3) | instskip(NEXT) | instid1(SALU_CYCLE_3)
	s_trunc_f32 s13, s13
	s_fmamk_f32 s3, s13, 0xcf800000, s3
	s_cvt_u32_f32 s17, s13
	s_delay_alu instid0(SALU_CYCLE_2) | instskip(NEXT) | instid1(SALU_CYCLE_3)
	s_cvt_u32_f32 s16, s3
	s_mul_u64 s[26:27], s[18:19], s[16:17]
	s_delay_alu instid0(SALU_CYCLE_1)
	s_mul_hi_u32 s35, s16, s27
	s_mul_i32 s34, s16, s27
	s_mul_hi_u32 s24, s16, s26
	s_mul_i32 s13, s17, s26
	s_add_nc_u64 s[24:25], s[24:25], s[34:35]
	s_mul_hi_u32 s3, s17, s26
	s_mul_hi_u32 s29, s17, s27
	s_add_co_u32 s13, s24, s13
	s_add_co_ci_u32 s30, s25, s3
	s_mul_i32 s26, s17, s27
	s_add_co_ci_u32 s27, s29, 0
	s_delay_alu instid0(SALU_CYCLE_1) | instskip(SKIP_3) | instid1(SALU_CYCLE_1)
	s_add_nc_u64 s[24:25], s[30:31], s[26:27]
	s_mov_b32 s27, s23
	s_add_co_u32 s16, s16, s24
	s_cselect_b32 s3, -1, 0
	s_cmp_lg_u32 s3, 0
	s_add_co_ci_u32 s17, s17, s25
	s_mov_b32 s25, s23
	s_mul_u64 s[18:19], s[18:19], s[16:17]
	s_delay_alu instid0(SALU_CYCLE_1)
	s_mul_hi_u32 s31, s16, s19
	s_mul_i32 s30, s16, s19
	s_mul_hi_u32 s24, s16, s18
	s_mul_i32 s13, s17, s18
	s_add_nc_u64 s[24:25], s[24:25], s[30:31]
	s_mul_hi_u32 s3, s17, s18
	s_mul_hi_u32 s29, s17, s19
	s_add_co_u32 s13, s24, s13
	s_add_co_ci_u32 s26, s25, s3
	s_mul_i32 s18, s17, s19
	s_add_co_ci_u32 s19, s29, 0
	s_add_nc_u64 s[24:25], s[22:23], 0
	s_add_nc_u64 s[18:19], s[26:27], s[18:19]
	s_delay_alu instid0(SALU_CYCLE_1) | instskip(SKIP_1) | instid1(SALU_CYCLE_1)
	s_add_co_u32 s3, s16, s18
	s_cselect_b32 s13, -1, 0
	s_cmp_lg_u32 s13, 0
	s_add_co_ci_u32 s13, s17, s19
	s_xor_b64 s[16:17], s[24:25], 0
	s_mov_b32 s19, s23
	s_mul_hi_u32 s25, s16, s13
	s_mul_i32 s24, s16, s13
	s_mul_hi_u32 s26, s16, s3
	s_mul_hi_u32 s18, s17, s3
	s_mul_i32 s3, s17, s3
	s_add_nc_u64 s[24:25], s[26:27], s[24:25]
	s_mul_hi_u32 s29, s17, s13
	s_add_co_u32 s3, s24, s3
	s_add_co_ci_u32 s18, s25, s18
	s_mul_i32 s26, s17, s13
	s_add_co_ci_u32 s27, s29, 0
	s_delay_alu instid0(SALU_CYCLE_1) | instskip(NEXT) | instid1(SALU_CYCLE_1)
	s_add_nc_u64 s[18:19], s[18:19], s[26:27]
	s_and_b64 s[24:25], s[18:19], 0xffffffff00000000
	s_delay_alu instid0(SALU_CYCLE_1) | instskip(NEXT) | instid1(SALU_CYCLE_1)
	s_or_b32 s24, s24, s18
	s_mul_u64 s[18:19], s[14:15], s[24:25]
	s_delay_alu instid0(SALU_CYCLE_1)
	s_sub_co_u32 s3, s16, s18
	s_cselect_b32 s13, -1, 0
	s_sub_co_i32 s16, s17, s19
	s_cmp_lg_u32 s13, 0
	s_sub_co_ci_u32 s16, s16, s15
	s_sub_co_u32 s18, s3, s14
	s_cselect_b32 s24, -1, 0
	s_delay_alu instid0(SALU_CYCLE_1) | instskip(SKIP_1) | instid1(SALU_CYCLE_1)
	s_cmp_lg_u32 s24, 0
	s_sub_co_ci_u32 s25, s16, 0
	s_cmp_ge_u32 s25, s15
	s_cselect_b32 s26, -1, 0
	s_cmp_ge_u32 s18, s14
	s_cselect_b32 s27, -1, 0
	s_cmp_eq_u32 s25, s15
	s_cselect_b32 s26, s27, s26
	s_cmp_lg_u32 s24, 0
	s_sub_co_ci_u32 s16, s16, s15
	s_sub_co_u32 s24, s18, s14
	s_cselect_b32 s27, -1, 0
	s_delay_alu instid0(SALU_CYCLE_1)
	s_cmp_lg_u32 s27, 0
	s_sub_co_ci_u32 s16, s16, 0
	s_cmp_lg_u32 s26, 0
	s_cselect_b32 s18, s24, s18
	s_cselect_b32 s16, s16, s25
	s_cmp_lg_u32 s13, 0
	s_sub_co_ci_u32 s13, s17, s19
	s_delay_alu instid0(SALU_CYCLE_1)
	s_cmp_ge_u32 s13, s15
	s_cselect_b32 s17, -1, 0
	s_cmp_ge_u32 s3, s14
	s_cselect_b32 s14, -1, 0
	s_cmp_eq_u32 s13, s15
	s_cselect_b32 s14, s14, s17
	s_delay_alu instid0(SALU_CYCLE_1) | instskip(SKIP_2) | instid1(SALU_CYCLE_1)
	s_cmp_lg_u32 s14, 0
	s_cselect_b32 s15, s16, s13
	s_cselect_b32 s14, s18, s3
	s_xor_b64 s[14:15], s[14:15], 0
	s_delay_alu instid0(SALU_CYCLE_1)
	s_sub_nc_u64 s[24:25], s[14:15], 0
	s_and_not1_b32 vcc_lo, exec_lo, s23
	s_cbranch_vccnz .LBB17_6
.LBB17_5:
	v_cvt_f32_u32_e32 v1, s12
	s_sub_co_i32 s13, 0, s12
	s_mov_b32 s25, 0
	s_delay_alu instid0(VALU_DEP_1) | instskip(SKIP_1) | instid1(TRANS32_DEP_1)
	v_rcp_iflag_f32_e32 v1, v1
	v_nop
	v_mul_f32_e32 v1, 0x4f7ffffe, v1
	s_delay_alu instid0(VALU_DEP_1) | instskip(NEXT) | instid1(VALU_DEP_1)
	v_cvt_u32_f32_e32 v1, v1
	v_readfirstlane_b32 s3, v1
	s_mul_i32 s13, s13, s3
	s_delay_alu instid0(SALU_CYCLE_1) | instskip(NEXT) | instid1(SALU_CYCLE_1)
	s_mul_hi_u32 s13, s3, s13
	s_add_co_i32 s3, s3, s13
	s_delay_alu instid0(SALU_CYCLE_1) | instskip(NEXT) | instid1(SALU_CYCLE_1)
	s_mul_hi_u32 s3, s22, s3
	s_mul_i32 s3, s3, s12
	s_delay_alu instid0(SALU_CYCLE_1) | instskip(NEXT) | instid1(SALU_CYCLE_1)
	s_sub_co_i32 s3, s22, s3
	s_sub_co_i32 s13, s3, s12
	s_cmp_ge_u32 s3, s12
	s_cselect_b32 s3, s13, s3
	s_delay_alu instid0(SALU_CYCLE_1)
	s_sub_co_i32 s13, s3, s12
	s_cmp_ge_u32 s3, s12
	s_cselect_b32 s24, s13, s3
.LBB17_6:
	s_load_b64 s[26:27], s[0:1], 0xa0
	v_mov_b32_e32 v1, 1.0
	s_wait_kmcnt 0x0
	s_cmp_le_f32 s11, 0
	s_cbranch_scc1 .LBB17_8
; %bb.7:
	s_clause 0x1
	s_load_b32 s3, s[0:1], 0x28
	s_load_b64 s[12:13], s[0:1], 0x98
	s_add_co_i32 s14, s2, 1
	s_wait_kmcnt 0x0
	s_sub_co_i32 s11, s2, s3
	s_delay_alu instid0(SALU_CYCLE_1) | instskip(NEXT) | instid1(SALU_CYCLE_1)
	s_lshl_b32 s11, s11, 1
	s_or_b32 s11, s11, 1
	s_cmp_lt_u32 s2, s3
	s_cselect_b32 s3, s14, s11
	s_cselect_b32 s12, s12, s13
	s_cvt_f32_i32 s3, s3
	s_cmp_neq_f32 s12, 1.0
	s_delay_alu instid0(SALU_CYCLE_2) | instskip(NEXT) | instid1(SALU_CYCLE_1)
	s_cselect_b32 s11, s3, 1.0
	s_cmp_neq_f32 s11, 0
	s_cselect_b32 s3, s12, 1.0
	s_delay_alu instid0(SALU_CYCLE_1) | instskip(NEXT) | instid1(VALU_DEP_1)
	v_cvt_f64_f32_e64 v[2:3], |s3|
	v_frexp_exp_i32_f64_e32 v1, v[2:3]
	v_frexp_mant_f32_e64 v2, |s3|
	s_delay_alu instid0(VALU_DEP_1) | instskip(SKIP_2) | instid1(SALU_CYCLE_1)
	v_readfirstlane_b32 s12, v2
	s_cmp_lt_f32 s12, 0x3f2aaaab
	s_cselect_b32 vcc_lo, -1, 0
	s_and_b32 s13, vcc_lo, exec_lo
	s_cselect_b32 s13, 2.0, 1.0
	s_delay_alu instid0(SALU_CYCLE_1) | instskip(NEXT) | instid1(SALU_CYCLE_3)
	s_mul_f32 s12, s12, s13
	s_add_f32 s13, s12, 1.0
	s_add_f32 s15, s12, -1.0
	s_delay_alu instid0(SALU_CYCLE_2) | instskip(SKIP_2) | instid1(SALU_CYCLE_2)
	v_s_rcp_f32 s14, s13
	s_add_f32 s18, s13, -1.0
	v_subrev_co_ci_u32_e64 v1, null, 0, v1, vcc_lo
	s_sub_f32 s12, s12, s18
	s_delay_alu instid0(TRANS32_DEP_1) | instskip(SKIP_1) | instid1(SALU_CYCLE_2)
	s_mul_f32 s16, s15, s14
	v_cvt_f32_i32_e32 v1, v1
	s_mul_f32 s17, s13, s16
	s_delay_alu instid0(SALU_CYCLE_3) | instskip(SKIP_1) | instid1(SALU_CYCLE_1)
	v_dual_mov_b32 v3, s15 :: v_dual_mov_b32 v4, s17
	s_xor_b32 s19, s17, 0x80000000
	s_fmac_f32 s19, s16, s13
	s_delay_alu instid0(SALU_CYCLE_3) | instskip(NEXT) | instid1(SALU_CYCLE_3)
	s_fmac_f32 s19, s16, s12
	s_add_f32 s12, s17, s19
	v_mov_b32_e32 v6, s19
	s_mov_b32 s17, 0x3e76c4e1
	s_delay_alu instid0(SALU_CYCLE_1) | instskip(SKIP_1) | instid1(SALU_CYCLE_2)
	s_sub_f32 s13, s15, s12
	v_dual_mov_b32 v2, s12 :: v_dual_mov_b32 v7, s12
	v_mov_b32_e32 v5, s13
	s_delay_alu instid0(VALU_DEP_1) | instskip(NEXT) | instid1(VALU_DEP_1)
	v_pk_add_f32 v[2:3], v[2:3], v[4:5] neg_lo:[0,1] neg_hi:[0,1]
	v_pk_add_f32 v[2:3], v[2:3], v[6:7] neg_lo:[0,1] neg_hi:[0,1]
	s_delay_alu instid0(VALU_DEP_1) | instskip(NEXT) | instid1(VALU_DEP_2)
	v_readfirstlane_b32 s12, v3
	v_readfirstlane_b32 s15, v2
	s_add_f32 s12, s15, s12
	s_delay_alu instid0(SALU_CYCLE_3) | instskip(NEXT) | instid1(SALU_CYCLE_3)
	s_add_f32 s12, s13, s12
	s_mul_f32 s13, s14, s12
	s_delay_alu instid0(SALU_CYCLE_3) | instskip(NEXT) | instid1(SALU_CYCLE_3)
	s_add_f32 s12, s16, s13
	s_sub_f32 s14, s12, s16
	s_mul_f32 s15, s12, s12
	s_delay_alu instid0(SALU_CYCLE_2) | instskip(NEXT) | instid1(SALU_CYCLE_2)
	s_sub_f32 s16, s13, s14
	s_xor_b32 s13, s15, 0x80000000
	s_delay_alu instid0(SALU_CYCLE_1) | instskip(NEXT) | instid1(SALU_CYCLE_1)
	s_fmac_f32 s13, s12, s12
	s_add_f32 s14, s16, s16
	s_delay_alu instid0(SALU_CYCLE_3) | instskip(NEXT) | instid1(SALU_CYCLE_3)
	s_fmac_f32 s13, s12, s14
	s_add_f32 s14, s15, s13
	s_delay_alu instid0(SALU_CYCLE_3) | instskip(SKIP_1) | instid1(SALU_CYCLE_2)
	s_fmaak_f32 s17, s14, s17, 0x3e91f4c4
	s_sub_f32 s15, s14, s15
	s_fmaak_f32 s17, s14, s17, 0x3ecccdef
	s_delay_alu instid0(SALU_CYCLE_2) | instskip(NEXT) | instid1(SALU_CYCLE_2)
	s_sub_f32 s23, s13, s15
	s_mul_f32 s18, s14, s17
	s_delay_alu instid0(SALU_CYCLE_3) | instskip(NEXT) | instid1(SALU_CYCLE_1)
	s_xor_b32 s19, s18, 0x80000000
	s_fmac_f32 s19, s14, s17
	s_delay_alu instid0(SALU_CYCLE_3) | instskip(NEXT) | instid1(SALU_CYCLE_3)
	s_fmac_f32 s19, s23, s17
	s_add_f32 s15, s18, s19
	s_delay_alu instid0(SALU_CYCLE_3) | instskip(SKIP_1) | instid1(SALU_CYCLE_2)
	s_sub_f32 s13, s15, s18
	s_add_f32 s17, s15, 0x3f2aaaaa
	s_sub_f32 s13, s19, s13
	s_delay_alu instid0(SALU_CYCLE_2) | instskip(NEXT) | instid1(SALU_CYCLE_2)
	s_add_f32 s18, s17, 0xbf2aaaaa
	s_add_f32 s13, s13, 0x31739010
	s_delay_alu instid0(SALU_CYCLE_2) | instskip(NEXT) | instid1(SALU_CYCLE_2)
	s_sub_f32 s15, s15, s18
	v_mov_b64_e32 v[2:3], s[12:13]
	s_delay_alu instid0(SALU_CYCLE_2) | instskip(NEXT) | instid1(VALU_DEP_1)
	v_mov_b64_e32 v[4:5], s[14:15]
	v_pk_mul_f32 v[6:7], v[2:3], v[4:5]
	v_pk_add_f32 v[2:3], v[2:3], v[4:5]
	v_mov_b32_e32 v9, s17
	s_delay_alu instid0(VALU_DEP_3) | instskip(NEXT) | instid1(VALU_DEP_3)
	v_xor_b32_e32 v8, 0x80000000, v6
	v_mov_b32_e32 v7, v3
	s_delay_alu instid0(VALU_DEP_2) | instskip(NEXT) | instid1(VALU_DEP_1)
	v_fmac_f32_e64 v8, s14, s12
	v_fmac_f32_e64 v8, s14, s16
	s_delay_alu instid0(VALU_DEP_1) | instskip(NEXT) | instid1(VALU_DEP_1)
	v_fmac_f32_e64 v8, s23, s12
	v_pk_add_f32 v[4:5], v[6:7], v[8:9]
	s_delay_alu instid0(VALU_DEP_1) | instskip(SKIP_1) | instid1(VALU_DEP_2)
	v_dual_mov_b32 v2, v5 :: v_dual_sub_f32 v7, s17, v5
	v_mul_f32_e32 v12, 0x3f317218, v1
	v_pk_mul_f32 v[10:11], v[4:5], v[2:3]
	s_delay_alu instid0(VALU_DEP_3) | instskip(NEXT) | instid1(VALU_DEP_3)
	v_add_f32_e32 v3, v3, v7
	v_xor_b32_e32 v7, 0x80000000, v12
	s_delay_alu instid0(VALU_DEP_3) | instskip(NEXT) | instid1(VALU_DEP_2)
	v_xor_b32_e32 v2, 0x80000000, v10
	v_dual_sub_f32 v6, v4, v6 :: v_dual_fmac_f32 v7, 0x3f317218, v1
	s_delay_alu instid0(VALU_DEP_2) | instskip(NEXT) | instid1(VALU_DEP_2)
	v_fmac_f32_e32 v2, v4, v5
	v_sub_f32_e32 v6, v8, v6
	s_delay_alu instid0(VALU_DEP_2) | instskip(NEXT) | instid1(VALU_DEP_1)
	v_fmac_f32_e32 v2, v4, v3
	v_fmac_f32_e32 v2, v6, v5
	v_fmamk_f32 v4, v1, 0xb102e308, v7
	v_ldexp_f32 v5, s12, 1
	v_ldexp_f32 v1, s16, 1
	s_delay_alu instid0(VALU_DEP_2) | instskip(NEXT) | instid1(VALU_DEP_1)
	v_dual_add_f32 v13, v10, v2 :: v_dual_mov_b32 v11, v5
	v_pk_add_f32 v[6:7], v[12:13], v[4:5]
	v_dual_mov_b32 v8, v13 :: v_dual_mov_b32 v3, v13
	s_delay_alu instid0(VALU_DEP_2) | instskip(SKIP_1) | instid1(VALU_DEP_2)
	v_dual_mov_b32 v9, v7 :: v_dual_mov_b32 v5, v6
	v_mov_b32_e32 v14, v7
	v_pk_add_f32 v[8:9], v[8:9], v[10:11] neg_lo:[0,1] neg_hi:[0,1]
	s_delay_alu instid0(VALU_DEP_1) | instskip(NEXT) | instid1(VALU_DEP_1)
	v_pk_add_f32 v[2:3], v[2:3], v[8:9] neg_lo:[0,1] neg_hi:[0,1]
	v_add_f32_e32 v1, v1, v2
	s_delay_alu instid0(VALU_DEP_1) | instskip(NEXT) | instid1(VALU_DEP_1)
	v_add_f32_e32 v13, v1, v3
	v_pk_add_f32 v[2:3], v[6:7], v[12:13]
	v_pk_add_f32 v[8:9], v[6:7], v[12:13] neg_lo:[0,1] neg_hi:[0,1]
	s_delay_alu instid0(VALU_DEP_2) | instskip(NEXT) | instid1(VALU_DEP_1)
	v_mov_b32_e32 v9, v3
	v_pk_add_f32 v[10:11], v[4:5], v[8:9]
	v_pk_add_f32 v[4:5], v[4:5], v[8:9] neg_lo:[0,1] neg_hi:[0,1]
	v_dual_mov_b32 v16, v3 :: v_dual_mov_b32 v5, v6
	s_delay_alu instid0(VALU_DEP_3) | instskip(NEXT) | instid1(VALU_DEP_3)
	v_dual_mov_b32 v12, v11 :: v_dual_mov_b32 v17, v11
	v_readfirstlane_b32 s12, v4
	s_delay_alu instid0(VALU_DEP_2) | instskip(NEXT) | instid1(VALU_DEP_2)
	v_pk_add_f32 v[8:9], v[12:13], v[6:7] neg_lo:[0,1] neg_hi:[0,1]
	v_dual_mov_b32 v4, v13 :: v_dual_mov_b32 v10, s12
	s_delay_alu instid0(VALU_DEP_2) | instskip(NEXT) | instid1(VALU_DEP_1)
	v_dual_mov_b32 v15, v8 :: v_dual_mov_b32 v1, v8
	v_pk_add_f32 v[6:7], v[16:17], v[14:15] neg_lo:[0,1] neg_hi:[0,1]
	s_delay_alu instid0(VALU_DEP_2) | instskip(SKIP_1) | instid1(VALU_DEP_3)
	v_pk_add_f32 v[2:3], v[2:3], v[0:1] neg_lo:[0,1] neg_hi:[0,1]
	v_mov_b32_e32 v2, s12
	v_pk_add_f32 v[4:5], v[4:5], v[6:7] neg_lo:[0,1] neg_hi:[0,1]
	s_delay_alu instid0(VALU_DEP_1) | instskip(NEXT) | instid1(VALU_DEP_1)
	v_pk_add_f32 v[2:3], v[2:3], v[4:5]
	v_readfirstlane_b32 s13, v2
	s_delay_alu instid0(VALU_DEP_2) | instskip(NEXT) | instid1(VALU_DEP_1)
	v_mov_b32_e32 v6, v3
	v_pk_add_f32 v[6:7], v[2:3], v[6:7]
	s_delay_alu instid0(VALU_DEP_3) | instskip(NEXT) | instid1(VALU_DEP_2)
	v_mov_b32_e32 v2, s13
	v_pk_add_f32 v[8:9], v[12:13], v[6:7]
	v_mov_b32_e32 v5, v6
	s_delay_alu instid0(VALU_DEP_2) | instskip(NEXT) | instid1(VALU_DEP_1)
	v_readfirstlane_b32 s14, v8
	v_mov_b32_e32 v3, s14
	s_delay_alu instid0(VALU_DEP_1) | instskip(NEXT) | instid1(VALU_DEP_1)
	v_pk_add_f32 v[2:3], v[2:3], v[10:11] neg_lo:[0,1] neg_hi:[0,1]
	v_readfirstlane_b32 s15, v2
	s_delay_alu instid0(VALU_DEP_2) | instskip(SKIP_1) | instid1(VALU_DEP_1)
	v_pk_add_f32 v[2:3], v[4:5], v[2:3] neg_lo:[0,1] neg_hi:[0,1]
	s_sub_f32 s13, s13, s15
	v_readfirstlane_b32 s15, v2
	s_delay_alu instid0(SALU_CYCLE_2) | instskip(SKIP_1) | instid1(SALU_CYCLE_2)
	s_sub_f32 s12, s12, s13
	v_readfirstlane_b32 s13, v3
	s_add_f32 s12, s15, s12
	s_delay_alu instid0(SALU_CYCLE_3) | instskip(NEXT) | instid1(SALU_CYCLE_3)
	s_add_f32 s12, s12, s13
	s_add_f32 s13, s14, s12
	s_delay_alu instid0(SALU_CYCLE_3) | instskip(SKIP_1) | instid1(SALU_CYCLE_2)
	s_mul_f32 s15, s11, s13
	s_sub_f32 s14, s13, s14
	s_xor_b32 s16, s15, 0x80000000
	s_delay_alu instid0(SALU_CYCLE_2) | instskip(SKIP_1) | instid1(SALU_CYCLE_3)
	s_sub_f32 s12, s12, s14
	s_fmac_f32 s16, s11, s13
	s_fmac_f32 s16, s11, s12
	v_cmp_class_f32_e64 s12, s15, 0x204
	s_delay_alu instid0(SALU_CYCLE_2) | instskip(SKIP_1) | instid1(SALU_CYCLE_2)
	s_add_f32 s13, s15, s16
	s_and_b32 s12, s12, exec_lo
	s_sub_f32 s12, s13, s15
	s_cselect_b32 s13, s15, s13
	s_delay_alu instid0(SALU_CYCLE_1) | instskip(NEXT) | instid1(SALU_CYCLE_1)
	s_and_b32 s14, s13, 0x7fffffff
	s_sub_f32 s12, s16, s12
	s_cmp_neq_f32 s14, 0x7f800000
	s_delay_alu instid0(SALU_CYCLE_2) | instskip(SKIP_2) | instid1(SALU_CYCLE_1)
	s_cselect_b32 s12, s12, 0
	s_cmp_eq_f32 s13, 0x42b17218
	s_cselect_b32 s14, 0x37000000, 0
	s_sub_f32 s13, s13, s14
	s_add_f32 s12, s14, s12
	s_delay_alu instid0(SALU_CYCLE_2) | instskip(NEXT) | instid1(SALU_CYCLE_3)
	s_mul_f32 s15, s13, 0x3fb8aa3b
	s_xor_b32 s16, s15, 0x80000000
	s_rndne_f32 s17, s15
	s_fmamk_f32 s16, s13, 0x3fb8aa3b, s16
	s_cmp_nlt_f32 s13, 0xc2ce8ed0
	s_delay_alu instid0(SALU_CYCLE_1) | instskip(NEXT) | instid1(SALU_CYCLE_1)
	s_sub_f32 s15, s15, s17
	s_fmamk_f32 s16, s13, 0x32a5705f, s16
	s_cselect_b32 vcc_lo, -1, 0
	s_cmp_ngt_f32 s13, 0x42b17218
	s_trunc_f32 s13, s11
	s_add_f32 s15, s15, s16
	s_cvt_i32_f32 s16, s17
	s_delay_alu instid0(SALU_CYCLE_2)
	v_s_exp_f32 s15, s15
	v_nop
	s_delay_alu instid0(TRANS32_DEP_1) | instid1(SALU_CYCLE_1)
	v_ldexp_f32 v1, s15, s16
	s_mul_f32 s15, s11, 0.5
	s_delay_alu instid0(VALU_DEP_1) | instskip(SKIP_3) | instid1(VALU_DEP_1)
	v_cndmask_b32_e32 v1, 0, v1, vcc_lo
	s_cselect_b32 vcc_lo, -1, 0
	s_cmp_eq_f32 s13, s11
	s_trunc_f32 s16, s15
	v_cndmask_b32_e32 v1, 0x7f800000, v1, vcc_lo
	s_cselect_b32 s17, -1, 0
	s_delay_alu instid0(SALU_CYCLE_1) | instskip(NEXT) | instid1(VALU_DEP_1)
	s_cmp_neq_f32 s16, s15
	v_fma_f32 v2, s12, v1, v1
	v_cmp_class_f32_e64 vcc_lo, v1, 0x204
	s_cselect_b32 s14, -1, 0
	s_delay_alu instid0(SALU_CYCLE_1)
	s_and_b32 s12, s17, s14
	v_cndmask_b32_e32 v1, v2, v1, vcc_lo
	s_and_b32 s14, s12, exec_lo
	s_cselect_b32 s14, s3, 1.0
	s_cmp_eq_f32 s13, s11
	v_cmp_class_f32_e64 s13, s3, 0x204
	v_bfi_b32 v1, 0x7fffffff, v1, s14
	s_cselect_b32 vcc_lo, -1, 0
	s_cmp_lt_f32 s3, 0
	s_delay_alu instid0(VALU_DEP_1) | instskip(SKIP_2) | instid1(VALU_DEP_1)
	v_cndmask_b32_e32 v2, 0x7fc00000, v1, vcc_lo
	s_cselect_b32 vcc_lo, -1, 0
	s_cmp_eq_f32 s3, 0
	v_cndmask_b32_e32 v1, v1, v2, vcc_lo
	s_cselect_b32 s14, -1, 0
	s_delay_alu instid0(SALU_CYCLE_1) | instskip(SKIP_2) | instid1(SALU_CYCLE_1)
	s_or_b32 vcc_lo, s14, s13
	s_cmp_lt_f32 s11, 0
	s_cselect_b32 s11, -1, 0
	s_xor_b32 s11, s11, s14
	s_delay_alu instid0(SALU_CYCLE_1)
	s_and_b32 s11, s11, exec_lo
	s_cselect_b32 s11, 0, 0x7f800000
	s_and_b32 s12, s12, exec_lo
	s_cselect_b32 s12, s3, 0
	s_cmp_o_f32 s3, s3
	v_mov_b32_e32 v2, s12
	s_delay_alu instid0(VALU_DEP_1) | instskip(NEXT) | instid1(VALU_DEP_1)
	v_bfi_b32 v2, 0x7fffffff, s11, v2
	v_cndmask_b32_e32 v1, v1, v2, vcc_lo
	s_cselect_b32 vcc_lo, -1, 0
	s_delay_alu instid0(VALU_DEP_1)
	v_cndmask_b32_e32 v1, 0x7fc00000, v1, vcc_lo
.LBB17_8:
	s_load_b256 s[12:19], s[0:1], 0x0
	s_wait_kmcnt 0x0
	s_cmp_lg_u64 s[16:17], 0
	s_cselect_b32 s3, -1, 0
	s_cmp_eq_u64 s[16:17], 0
	s_cbranch_scc1 .LBB17_12
; %bb.9:
	s_load_b32 s11, s[16:17], s2 offset:0x0 scale_offset
	s_branch .LBB17_13
.LBB17_10:
                                        ; implicit-def: $sgpr20_sgpr21
	s_branch .LBB17_2
.LBB17_11:
                                        ; implicit-def: $sgpr24_sgpr25
	s_branch .LBB17_5
.LBB17_12:
	s_mov_b32 s11, 0xff800000
.LBB17_13:
	s_bfe_u32 s0, ttmp6, 0x4000c
	s_and_b32 s1, ttmp6, 15
	s_add_co_i32 s0, s0, 1
	s_mul_i32 s22, s27, s22
	s_mul_i32 s0, ttmp9, s0
	v_mov_b32_e32 v8, 0
	s_add_co_i32 s1, s1, s0
	s_cmp_eq_u32 s28, 0
	s_cselect_b32 s0, ttmp9, s1
	s_add_co_i32 s1, s22, s2
	s_delay_alu instid0(SALU_CYCLE_1) | instskip(NEXT) | instid1(SALU_CYCLE_1)
	s_mul_i32 s1, s1, s26
	s_add_co_i32 s22, s1, s0
	s_mov_b32 s1, 0
	s_ashr_i32 s23, s22, 31
	s_delay_alu instid0(SALU_CYCLE_1)
	s_lshl_b64 s[26:27], s[22:23], 11
	s_cmp_eq_u64 s[14:15], 0
	s_add_nc_u64 s[12:13], s[12:13], s[26:27]
	global_load_b32 v2, v0, s[12:13] scale_offset
	s_wait_xcnt 0x0
	s_cselect_b32 s12, -1, 0
	s_cmp_lg_u64 s[14:15], 0
	s_cbranch_scc0 .LBB17_15
; %bb.14:
	s_mul_u64 s[0:1], s[4:5], s[0:1]
	s_mul_u64 s[4:5], s[20:21], s[6:7]
	s_mul_u64 s[6:7], s[24:25], s[8:9]
	s_add_nc_u64 s[0:1], s[4:5], s[0:1]
	s_delay_alu instid0(SALU_CYCLE_1) | instskip(NEXT) | instid1(SALU_CYCLE_1)
	s_add_nc_u64 s[0:1], s[0:1], s[6:7]
	s_lshr_b64 s[0:1], s[0:1], 2
	s_and_b32 s4, s12, exec_lo
	s_cselect_b32 s1, 0, s1
	s_cselect_b32 s0, 0, s0
	s_delay_alu instid0(SALU_CYCLE_1) | instskip(NEXT) | instid1(SALU_CYCLE_1)
	s_lshl_b64 s[0:1], s[0:1], 2
	s_add_nc_u64 s[0:1], s[14:15], s[0:1]
	global_load_b32 v3, v0, s[0:1] scale_offset
	s_wait_loadcnt 0x0
	v_mul_f32_e32 v8, v1, v3
.LBB17_15:
	v_mbcnt_lo_u32_b32 v1, -1, 0
	s_wait_loadcnt 0x0
	s_delay_alu instid0(VALU_DEP_2) | instskip(SKIP_3) | instid1(VALU_DEP_2)
	v_fmac_f32_e32 v8, s10, v2
	s_wait_kmcnt 0x0
	v_max_num_f32_e64 v2, s11, s11
	v_xor_b32_e32 v3, 16, v1
	v_dual_max_num_f32 v4, v2, v8 :: v_dual_bitop2_b32 v5, 8, v1 bitop3:0x14
	s_delay_alu instid0(VALU_DEP_2) | instskip(SKIP_1) | instid1(VALU_DEP_3)
	v_cmp_gt_i32_e32 vcc_lo, 32, v3
	v_cndmask_b32_e32 v3, v1, v3, vcc_lo
	v_cmp_gt_i32_e32 vcc_lo, 32, v5
	s_delay_alu instid0(VALU_DEP_2) | instskip(SKIP_3) | instid1(VALU_DEP_1)
	v_lshlrev_b32_e32 v2, 2, v3
	ds_bpermute_b32 v3, v2, v4
	s_wait_dscnt 0x0
	v_dual_cndmask_b32 v5, v1, v5 :: v_dual_max_num_f32 v6, v3, v3
	v_dual_lshlrev_b32 v3, 2, v5 :: v_dual_max_num_f32 v5, v4, v6
	ds_bpermute_b32 v4, v3, v5
	s_wait_dscnt 0x0
	v_dual_max_num_f32 v7, v4, v4 :: v_dual_bitop2_b32 v6, 4, v1 bitop3:0x14
	s_delay_alu instid0(VALU_DEP_1) | instskip(SKIP_1) | instid1(VALU_DEP_1)
	v_cmp_gt_i32_e32 vcc_lo, 32, v6
	v_cndmask_b32_e32 v6, v1, v6, vcc_lo
	v_dual_lshlrev_b32 v4, 2, v6 :: v_dual_max_num_f32 v6, v5, v7
	v_xor_b32_e32 v7, 2, v1
	ds_bpermute_b32 v5, v4, v6
	v_cmp_gt_i32_e32 vcc_lo, 32, v7
	s_wait_dscnt 0x0
	v_max_num_f32_e32 v9, v5, v5
	s_delay_alu instid0(VALU_DEP_1) | instskip(NEXT) | instid1(VALU_DEP_1)
	v_dual_cndmask_b32 v7, v1, v7 :: v_dual_max_num_f32 v6, v6, v9
	v_lshlrev_b32_e32 v5, 2, v7
	ds_bpermute_b32 v7, v5, v6
	s_wait_dscnt 0x0
	v_dual_max_num_f32 v7, v7, v7 :: v_dual_bitop2_b32 v9, 1, v1 bitop3:0x14
	s_delay_alu instid0(VALU_DEP_1) | instskip(NEXT) | instid1(VALU_DEP_2)
	v_cmp_gt_i32_e32 vcc_lo, 32, v9
	v_dual_max_num_f32 v10, v6, v7 :: v_dual_cndmask_b32 v1, v1, v9
	v_dual_lshrrev_b32 v7, 3, v0 :: v_dual_bitop2_b32 v9, 31, v0 bitop3:0x40
	s_delay_alu instid0(VALU_DEP_2) | instskip(SKIP_1) | instid1(VALU_DEP_3)
	v_lshlrev_b32_e32 v6, 2, v1
	v_lshl_add_u32 v1, v0, 2, 0
	v_cmp_eq_u32_e32 vcc_lo, 0, v9
	ds_bpermute_b32 v11, v6, v10
	ds_store_b32 v1, v8 offset:128
	s_and_saveexec_b32 s0, vcc_lo
	s_delay_alu instid0(SALU_CYCLE_1)
	s_xor_b32 s0, exec_lo, s0
	s_cbranch_execz .LBB17_17
; %bb.16:
	s_wait_dscnt 0x1
	v_dual_max_num_f32 v8, v11, v11 :: v_dual_max_num_f32 v10, v10, v10
	s_delay_alu instid0(VALU_DEP_1)
	v_dual_max_num_f32 v8, v10, v8 :: v_dual_add_nc_u32 v10, 0, v7
	ds_store_b32 v10, v8
.LBB17_17:
	s_or_b32 exec_lo, exec_lo, s0
	v_cmp_gt_u32_e64 s0, 16, v9
	v_mov_b32_e32 v10, 0xff800000
	v_lshl_add_u32 v8, v9, 2, 0
	s_wait_dscnt 0x0
	s_barrier_signal -1
	s_barrier_wait -1
	s_and_saveexec_b32 s1, s0
; %bb.18:
	ds_load_b32 v10, v8
; %bb.19:
	s_or_b32 exec_lo, exec_lo, s1
	s_wait_dscnt 0x0
	ds_bpermute_b32 v9, v2, v10
	v_max_num_f32_e32 v10, v10, v10
	ds_load_b32 v11, v1 offset:128
	s_wait_dscnt 0x1
	v_max_num_f32_e32 v9, v9, v9
	s_delay_alu instid0(VALU_DEP_1) | instskip(SKIP_3) | instid1(VALU_DEP_1)
	v_max_num_f32_e32 v9, v10, v9
	ds_bpermute_b32 v10, v3, v9
	s_wait_dscnt 0x0
	v_max_num_f32_e32 v10, v10, v10
	v_max_num_f32_e32 v9, v9, v10
	ds_bpermute_b32 v10, v4, v9
	s_wait_dscnt 0x0
	v_max_num_f32_e32 v10, v10, v10
	s_delay_alu instid0(VALU_DEP_1) | instskip(SKIP_3) | instid1(VALU_DEP_1)
	v_max_num_f32_e32 v9, v9, v10
	ds_bpermute_b32 v10, v5, v9
	s_wait_dscnt 0x0
	v_max_num_f32_e32 v10, v10, v10
	v_max_num_f32_e32 v9, v9, v10
	ds_bpermute_b32 v10, v6, v9
	s_wait_dscnt 0x0
	v_max_num_f32_e32 v10, v10, v10
	s_delay_alu instid0(VALU_DEP_1) | instskip(NEXT) | instid1(VALU_DEP_1)
	v_max_num_f32_e32 v9, v9, v10
	v_sub_f32_e32 v10, v11, v9
	s_delay_alu instid0(VALU_DEP_1) | instskip(NEXT) | instid1(VALU_DEP_1)
	v_mul_f32_e32 v11, 0x3fb8aa3b, v10
	v_fma_f32 v12, 0x3fb8aa3b, v10, -v11
	v_rndne_f32_e32 v13, v11
	s_delay_alu instid0(VALU_DEP_1) | instskip(NEXT) | instid1(VALU_DEP_1)
	v_dual_fmamk_f32 v12, v10, 0x32a5705f, v12 :: v_dual_sub_f32 v11, v11, v13
	v_add_f32_e32 v11, v11, v12
	v_cvt_i32_f32_e32 v12, v13
	v_cmp_ngt_f32_e64 s1, 0xc2ce8ed0, v10
	s_delay_alu instid0(VALU_DEP_3) | instskip(SKIP_1) | instid1(TRANS32_DEP_1)
	v_exp_f32_e32 v11, v11
	v_nop
	v_ldexp_f32 v11, v11, v12
	s_delay_alu instid0(VALU_DEP_1) | instskip(SKIP_1) | instid1(VALU_DEP_1)
	v_cndmask_b32_e64 v11, 0, v11, s1
	v_cmp_nlt_f32_e64 s1, 0x42b17218, v10
	v_cndmask_b32_e64 v12, 0x7f800000, v11, s1
	ds_bpermute_b32 v10, v2, v12
	ds_store_b32 v1, v12 offset:128
	s_wait_dscnt 0x1
	v_add_f32_e32 v10, v12, v10
	ds_bpermute_b32 v11, v3, v10
	s_wait_dscnt 0x0
	v_add_f32_e32 v10, v10, v11
	ds_bpermute_b32 v11, v4, v10
	s_wait_dscnt 0x0
	v_add_f32_e32 v10, v10, v11
	ds_bpermute_b32 v11, v5, v10
	s_wait_dscnt 0x0
	v_add_f32_e32 v10, v10, v11
	ds_bpermute_b32 v11, v6, v10
	s_and_saveexec_b32 s1, vcc_lo
	s_cbranch_execz .LBB17_21
; %bb.20:
	s_wait_dscnt 0x0
	v_add_f32_e32 v10, v10, v11
	v_add_nc_u32_e32 v7, 0, v7
	ds_store_b32 v7, v10
.LBB17_21:
	s_or_b32 exec_lo, exec_lo, s1
	v_mov_b32_e32 v7, 0
	s_wait_dscnt 0x0
	s_barrier_signal -1
	s_barrier_wait -1
	s_and_saveexec_b32 s1, s0
; %bb.22:
	ds_load_b32 v7, v8
; %bb.23:
	s_or_b32 exec_lo, exec_lo, s1
	s_wait_dscnt 0x0
	ds_bpermute_b32 v2, v2, v7
	s_and_not1_b32 vcc_lo, exec_lo, s3
	s_lshl_b64 s[0:1], s[22:23], 9
	s_wait_dscnt 0x0
	v_add_f32_e32 v2, v7, v2
	ds_bpermute_b32 v3, v3, v2
	s_wait_dscnt 0x0
	v_add_f32_e32 v2, v2, v3
	ds_bpermute_b32 v3, v4, v2
	;; [unrolled: 3-line block ×4, first 2 shown]
	s_wait_dscnt 0x0
	v_add_f32_e32 v2, v2, v3
	s_cbranch_vccnz .LBB17_25
; %bb.24:
	s_load_b32 s2, s[16:17], s2 offset:0x0 scale_offset
	s_wait_kmcnt 0x0
	v_sub_f32_e32 v3, s2, v9
	s_delay_alu instid0(VALU_DEP_1) | instskip(NEXT) | instid1(VALU_DEP_1)
	v_mul_f32_e32 v4, 0x3fb8aa3b, v3
	v_fma_f32 v5, 0x3fb8aa3b, v3, -v4
	v_rndne_f32_e32 v6, v4
	s_delay_alu instid0(VALU_DEP_1) | instskip(SKIP_1) | instid1(VALU_DEP_4)
	v_sub_f32_e32 v4, v4, v6
	v_cmp_ngt_f32_e32 vcc_lo, 0xc2ce8ed0, v3
	v_fmamk_f32 v5, v3, 0x32a5705f, v5
	s_delay_alu instid0(VALU_DEP_1) | instskip(SKIP_1) | instid1(VALU_DEP_2)
	v_add_f32_e32 v4, v4, v5
	v_cvt_i32_f32_e32 v5, v6
	v_exp_f32_e32 v4, v4
	v_nop
	s_delay_alu instid0(TRANS32_DEP_1) | instskip(NEXT) | instid1(VALU_DEP_1)
	v_ldexp_f32 v4, v4, v5
	v_cndmask_b32_e32 v4, 0, v4, vcc_lo
	v_cmp_nlt_f32_e32 vcc_lo, 0x42b17218, v3
	s_delay_alu instid0(VALU_DEP_2) | instskip(NEXT) | instid1(VALU_DEP_1)
	v_cndmask_b32_e32 v3, 0x7f800000, v4, vcc_lo
	v_add_f32_e32 v2, v2, v3
.LBB17_25:
	s_delay_alu instid0(VALU_DEP_1) | instskip(SKIP_4) | instid1(SALU_CYCLE_1)
	v_div_scale_f32 v3, null, v2, v2, 1.0
	v_div_scale_f32 v6, vcc_lo, 1.0, v2, 1.0
	ds_load_b32 v1, v1 offset:128
	v_rcp_f32_e32 v4, v3
	s_lshl_b64 s[0:1], s[0:1], 2
	s_add_nc_u64 s[0:1], s[18:19], s[0:1]
	v_nop
	s_delay_alu instid0(TRANS32_DEP_1) | instskip(NEXT) | instid1(VALU_DEP_1)
	v_fma_f32 v5, -v3, v4, 1.0
	v_fmac_f32_e32 v4, v5, v4
	s_delay_alu instid0(VALU_DEP_1) | instskip(NEXT) | instid1(VALU_DEP_1)
	v_mul_f32_e32 v5, v6, v4
	v_fma_f32 v7, -v3, v5, v6
	s_delay_alu instid0(VALU_DEP_1) | instskip(NEXT) | instid1(VALU_DEP_1)
	v_fmac_f32_e32 v5, v7, v4
	v_fma_f32 v3, -v3, v5, v6
	s_delay_alu instid0(VALU_DEP_1) | instskip(NEXT) | instid1(VALU_DEP_1)
	v_div_fmas_f32 v3, v3, v4, v5
	v_div_fixup_f32 v2, v3, v2, 1.0
	s_wait_dscnt 0x0
	s_delay_alu instid0(VALU_DEP_1)
	v_mul_f32_e32 v1, v2, v1
	global_store_b32 v0, v1, s[0:1] scale_offset
	s_endpgm
	.section	.rodata,"a",@progbits
	.p2align	6, 0x0
	.amdhsa_kernel _ZL12soft_max_f32ILb1ELi512ELi512EfEvPKfPKT2_S1_Pf15soft_max_params
		.amdhsa_group_segment_fixed_size 0
		.amdhsa_private_segment_fixed_size 0
		.amdhsa_kernarg_size 416
		.amdhsa_user_sgpr_count 2
		.amdhsa_user_sgpr_dispatch_ptr 0
		.amdhsa_user_sgpr_queue_ptr 0
		.amdhsa_user_sgpr_kernarg_segment_ptr 1
		.amdhsa_user_sgpr_dispatch_id 0
		.amdhsa_user_sgpr_kernarg_preload_length 0
		.amdhsa_user_sgpr_kernarg_preload_offset 0
		.amdhsa_user_sgpr_private_segment_size 0
		.amdhsa_wavefront_size32 1
		.amdhsa_uses_dynamic_stack 0
		.amdhsa_enable_private_segment 0
		.amdhsa_system_sgpr_workgroup_id_x 1
		.amdhsa_system_sgpr_workgroup_id_y 1
		.amdhsa_system_sgpr_workgroup_id_z 1
		.amdhsa_system_sgpr_workgroup_info 0
		.amdhsa_system_vgpr_workitem_id 0
		.amdhsa_next_free_vgpr 18
		.amdhsa_next_free_sgpr 36
		.amdhsa_named_barrier_count 0
		.amdhsa_reserve_vcc 1
		.amdhsa_float_round_mode_32 0
		.amdhsa_float_round_mode_16_64 0
		.amdhsa_float_denorm_mode_32 3
		.amdhsa_float_denorm_mode_16_64 3
		.amdhsa_fp16_overflow 0
		.amdhsa_memory_ordered 1
		.amdhsa_forward_progress 1
		.amdhsa_inst_pref_size 35
		.amdhsa_round_robin_scheduling 0
		.amdhsa_exception_fp_ieee_invalid_op 0
		.amdhsa_exception_fp_denorm_src 0
		.amdhsa_exception_fp_ieee_div_zero 0
		.amdhsa_exception_fp_ieee_overflow 0
		.amdhsa_exception_fp_ieee_underflow 0
		.amdhsa_exception_fp_ieee_inexact 0
		.amdhsa_exception_int_div_zero 0
	.end_amdhsa_kernel
	.section	.text._ZL12soft_max_f32ILb1ELi512ELi512EfEvPKfPKT2_S1_Pf15soft_max_params,"axG",@progbits,_ZL12soft_max_f32ILb1ELi512ELi512EfEvPKfPKT2_S1_Pf15soft_max_params,comdat
.Lfunc_end17:
	.size	_ZL12soft_max_f32ILb1ELi512ELi512EfEvPKfPKT2_S1_Pf15soft_max_params, .Lfunc_end17-_ZL12soft_max_f32ILb1ELi512ELi512EfEvPKfPKT2_S1_Pf15soft_max_params
                                        ; -- End function
	.set _ZL12soft_max_f32ILb1ELi512ELi512EfEvPKfPKT2_S1_Pf15soft_max_params.num_vgpr, 18
	.set _ZL12soft_max_f32ILb1ELi512ELi512EfEvPKfPKT2_S1_Pf15soft_max_params.num_agpr, 0
	.set _ZL12soft_max_f32ILb1ELi512ELi512EfEvPKfPKT2_S1_Pf15soft_max_params.numbered_sgpr, 36
	.set _ZL12soft_max_f32ILb1ELi512ELi512EfEvPKfPKT2_S1_Pf15soft_max_params.num_named_barrier, 0
	.set _ZL12soft_max_f32ILb1ELi512ELi512EfEvPKfPKT2_S1_Pf15soft_max_params.private_seg_size, 0
	.set _ZL12soft_max_f32ILb1ELi512ELi512EfEvPKfPKT2_S1_Pf15soft_max_params.uses_vcc, 1
	.set _ZL12soft_max_f32ILb1ELi512ELi512EfEvPKfPKT2_S1_Pf15soft_max_params.uses_flat_scratch, 0
	.set _ZL12soft_max_f32ILb1ELi512ELi512EfEvPKfPKT2_S1_Pf15soft_max_params.has_dyn_sized_stack, 0
	.set _ZL12soft_max_f32ILb1ELi512ELi512EfEvPKfPKT2_S1_Pf15soft_max_params.has_recursion, 0
	.set _ZL12soft_max_f32ILb1ELi512ELi512EfEvPKfPKT2_S1_Pf15soft_max_params.has_indirect_call, 0
	.section	.AMDGPU.csdata,"",@progbits
; Kernel info:
; codeLenInByte = 4376
; TotalNumSgprs: 38
; NumVgprs: 18
; ScratchSize: 0
; MemoryBound: 0
; FloatMode: 240
; IeeeMode: 1
; LDSByteSize: 0 bytes/workgroup (compile time only)
; SGPRBlocks: 0
; VGPRBlocks: 1
; NumSGPRsForWavesPerEU: 38
; NumVGPRsForWavesPerEU: 18
; NamedBarCnt: 0
; Occupancy: 16
; WaveLimiterHint : 1
; COMPUTE_PGM_RSRC2:SCRATCH_EN: 0
; COMPUTE_PGM_RSRC2:USER_SGPR: 2
; COMPUTE_PGM_RSRC2:TRAP_HANDLER: 0
; COMPUTE_PGM_RSRC2:TGID_X_EN: 1
; COMPUTE_PGM_RSRC2:TGID_Y_EN: 1
; COMPUTE_PGM_RSRC2:TGID_Z_EN: 1
; COMPUTE_PGM_RSRC2:TIDIG_COMP_CNT: 0
	.section	.text._ZL12soft_max_f32ILb1ELi256ELi256EfEvPKfPKT2_S1_Pf15soft_max_params,"axG",@progbits,_ZL12soft_max_f32ILb1ELi256ELi256EfEvPKfPKT2_S1_Pf15soft_max_params,comdat
	.globl	_ZL12soft_max_f32ILb1ELi256ELi256EfEvPKfPKT2_S1_Pf15soft_max_params ; -- Begin function _ZL12soft_max_f32ILb1ELi256ELi256EfEvPKfPKT2_S1_Pf15soft_max_params
	.p2align	8
	.type	_ZL12soft_max_f32ILb1ELi256ELi256EfEvPKfPKT2_S1_Pf15soft_max_params,@function
_ZL12soft_max_f32ILb1ELi256ELi256EfEvPKfPKT2_S1_Pf15soft_max_params: ; @_ZL12soft_max_f32ILb1ELi256ELi256EfEvPKfPKT2_S1_Pf15soft_max_params
; %bb.0:
	s_clause 0x1
	s_load_b256 s[4:11], s[0:1], 0x68
	s_load_b64 s[12:13], s[0:1], 0x88
	s_bfe_u32 s2, ttmp6, 0x40010
	s_and_b32 s3, ttmp7, 0xffff
	s_add_co_i32 s2, s2, 1
	s_bfe_u32 s14, ttmp6, 0x40004
	s_mul_i32 s2, s3, s2
	s_getreg_b32 s28, hwreg(HW_REG_IB_STS2, 6, 4)
	s_add_co_i32 s14, s14, s2
	s_cmp_eq_u32 s28, 0
	s_cselect_b32 s2, s3, s14
	s_mov_b32 s3, 0
	s_wait_kmcnt 0x0
	s_and_b64 s[14:15], s[10:11], 0xffffffff00000000
	s_delay_alu instid0(SALU_CYCLE_1)
	s_cmp_lg_u64 s[14:15], 0
	s_cbranch_scc0 .LBB18_10
; %bb.1:
	s_ashr_i32 s14, s11, 31
	s_mov_b32 s21, s3
	s_mov_b32 s15, s14
	;; [unrolled: 1-line block ×3, first 2 shown]
	s_add_nc_u64 s[16:17], s[10:11], s[14:15]
	s_delay_alu instid0(SALU_CYCLE_1) | instskip(NEXT) | instid1(SALU_CYCLE_1)
	s_xor_b64 s[14:15], s[16:17], s[14:15]
	s_cvt_f32_u32 s11, s14
	s_cvt_f32_u32 s16, s15
	s_sub_nc_u64 s[18:19], 0, s[14:15]
	s_delay_alu instid0(SALU_CYCLE_2) | instskip(NEXT) | instid1(SALU_CYCLE_3)
	s_fmamk_f32 s11, s16, 0x4f800000, s11
	v_s_rcp_f32 s11, s11
	s_delay_alu instid0(TRANS32_DEP_1) | instskip(NEXT) | instid1(SALU_CYCLE_3)
	s_mul_f32 s11, s11, 0x5f7ffffc
	s_mul_f32 s16, s11, 0x2f800000
	s_delay_alu instid0(SALU_CYCLE_3) | instskip(NEXT) | instid1(SALU_CYCLE_3)
	s_trunc_f32 s16, s16
	s_fmamk_f32 s11, s16, 0xcf800000, s11
	s_cvt_u32_f32 s17, s16
	s_delay_alu instid0(SALU_CYCLE_2) | instskip(NEXT) | instid1(SALU_CYCLE_3)
	s_cvt_u32_f32 s16, s11
	s_mul_u64 s[22:23], s[18:19], s[16:17]
	s_delay_alu instid0(SALU_CYCLE_1)
	s_mul_hi_u32 s27, s16, s23
	s_mul_i32 s26, s16, s23
	s_mul_hi_u32 s20, s16, s22
	s_mul_i32 s24, s17, s22
	s_add_nc_u64 s[20:21], s[20:21], s[26:27]
	s_mul_hi_u32 s11, s17, s22
	s_mul_hi_u32 s29, s17, s23
	s_add_co_u32 s20, s20, s24
	s_add_co_ci_u32 s24, s21, s11
	s_mul_i32 s22, s17, s23
	s_add_co_ci_u32 s23, s29, 0
	s_delay_alu instid0(SALU_CYCLE_1) | instskip(SKIP_3) | instid1(SALU_CYCLE_1)
	s_add_nc_u64 s[20:21], s[24:25], s[22:23]
	s_mov_b32 s23, s3
	s_add_co_u32 s16, s16, s20
	s_cselect_b32 s11, -1, 0
	s_cmp_lg_u32 s11, 0
	s_add_co_ci_u32 s17, s17, s21
	s_mov_b32 s21, s3
	s_mul_u64 s[18:19], s[18:19], s[16:17]
	s_delay_alu instid0(SALU_CYCLE_1)
	s_mul_hi_u32 s25, s16, s19
	s_mul_i32 s24, s16, s19
	s_mul_hi_u32 s20, s16, s18
	s_mul_i32 s22, s17, s18
	s_add_nc_u64 s[20:21], s[20:21], s[24:25]
	s_mul_hi_u32 s11, s17, s18
	s_mul_hi_u32 s26, s17, s19
	s_mul_i32 s18, s17, s19
	s_add_co_u32 s19, s20, s22
	s_add_co_ci_u32 s22, s21, s11
	s_add_co_ci_u32 s19, s26, 0
	s_add_nc_u64 s[20:21], s[2:3], 0
	s_add_nc_u64 s[18:19], s[22:23], s[18:19]
	s_delay_alu instid0(SALU_CYCLE_1) | instskip(SKIP_1) | instid1(SALU_CYCLE_1)
	s_add_co_u32 s11, s16, s18
	s_cselect_b32 s16, -1, 0
	s_cmp_lg_u32 s16, 0
	s_add_co_ci_u32 s18, s17, s19
	s_xor_b64 s[16:17], s[20:21], 0
	s_mov_b32 s19, s3
	s_mul_hi_u32 s21, s16, s18
	s_mul_i32 s20, s16, s18
	s_mul_hi_u32 s22, s16, s11
	s_mul_hi_u32 s25, s17, s11
	s_mul_i32 s11, s17, s11
	s_add_nc_u64 s[20:21], s[22:23], s[20:21]
	s_mul_hi_u32 s24, s17, s18
	s_add_co_u32 s11, s20, s11
	s_mul_i32 s22, s17, s18
	s_add_co_ci_u32 s18, s21, s25
	s_add_co_ci_u32 s23, s24, 0
	s_delay_alu instid0(SALU_CYCLE_1) | instskip(NEXT) | instid1(SALU_CYCLE_1)
	s_add_nc_u64 s[18:19], s[18:19], s[22:23]
	s_and_b64 s[20:21], s[18:19], 0xffffffff00000000
	s_delay_alu instid0(SALU_CYCLE_1) | instskip(NEXT) | instid1(SALU_CYCLE_1)
	s_or_b32 s20, s20, s18
	s_mul_u64 s[18:19], s[14:15], s[20:21]
	s_delay_alu instid0(SALU_CYCLE_1)
	s_sub_co_u32 s11, s16, s18
	s_cselect_b32 s16, -1, 0
	s_sub_co_i32 s18, s17, s19
	s_cmp_lg_u32 s16, 0
	s_sub_co_ci_u32 s18, s18, s15
	s_sub_co_u32 s20, s11, s14
	s_cselect_b32 s21, -1, 0
	s_delay_alu instid0(SALU_CYCLE_1) | instskip(SKIP_1) | instid1(SALU_CYCLE_1)
	s_cmp_lg_u32 s21, 0
	s_sub_co_ci_u32 s22, s18, 0
	s_cmp_ge_u32 s22, s15
	s_cselect_b32 s23, -1, 0
	s_cmp_ge_u32 s20, s14
	s_cselect_b32 s24, -1, 0
	s_cmp_eq_u32 s22, s15
	s_cselect_b32 s23, s24, s23
	s_cmp_lg_u32 s21, 0
	s_sub_co_ci_u32 s18, s18, s15
	s_sub_co_u32 s21, s20, s14
	s_cselect_b32 s24, -1, 0
	s_delay_alu instid0(SALU_CYCLE_1)
	s_cmp_lg_u32 s24, 0
	s_sub_co_ci_u32 s18, s18, 0
	s_cmp_lg_u32 s23, 0
	s_cselect_b32 s20, s21, s20
	s_cselect_b32 s18, s18, s22
	s_cmp_lg_u32 s16, 0
	s_sub_co_ci_u32 s16, s17, s19
	s_delay_alu instid0(SALU_CYCLE_1)
	s_cmp_ge_u32 s16, s15
	s_cselect_b32 s17, -1, 0
	s_cmp_ge_u32 s11, s14
	s_cselect_b32 s14, -1, 0
	s_cmp_eq_u32 s16, s15
	s_cselect_b32 s14, s14, s17
	s_delay_alu instid0(SALU_CYCLE_1) | instskip(SKIP_2) | instid1(SALU_CYCLE_1)
	s_cmp_lg_u32 s14, 0
	s_cselect_b32 s15, s18, s16
	s_cselect_b32 s14, s20, s11
	s_xor_b64 s[14:15], s[14:15], 0
	s_delay_alu instid0(SALU_CYCLE_1)
	s_sub_nc_u64 s[20:21], s[14:15], 0
	s_and_not1_b32 vcc_lo, exec_lo, s3
	s_cbranch_vccnz .LBB18_3
.LBB18_2:
	v_cvt_f32_u32_e32 v1, s10
	s_sub_co_i32 s11, 0, s10
	s_mov_b32 s21, 0
	s_delay_alu instid0(VALU_DEP_1) | instskip(SKIP_1) | instid1(TRANS32_DEP_1)
	v_rcp_iflag_f32_e32 v1, v1
	v_nop
	v_mul_f32_e32 v1, 0x4f7ffffe, v1
	s_delay_alu instid0(VALU_DEP_1) | instskip(NEXT) | instid1(VALU_DEP_1)
	v_cvt_u32_f32_e32 v1, v1
	v_readfirstlane_b32 s3, v1
	s_mul_i32 s11, s11, s3
	s_delay_alu instid0(SALU_CYCLE_1) | instskip(NEXT) | instid1(SALU_CYCLE_1)
	s_mul_hi_u32 s11, s3, s11
	s_add_co_i32 s3, s3, s11
	s_delay_alu instid0(SALU_CYCLE_1) | instskip(NEXT) | instid1(SALU_CYCLE_1)
	s_mul_hi_u32 s3, s2, s3
	s_mul_i32 s3, s3, s10
	s_delay_alu instid0(SALU_CYCLE_1) | instskip(NEXT) | instid1(SALU_CYCLE_1)
	s_sub_co_i32 s3, s2, s3
	s_sub_co_i32 s11, s3, s10
	s_cmp_ge_u32 s3, s10
	s_cselect_b32 s3, s11, s3
	s_delay_alu instid0(SALU_CYCLE_1)
	s_sub_co_i32 s11, s3, s10
	s_cmp_ge_u32 s3, s10
	s_cselect_b32 s20, s11, s3
.LBB18_3:
	s_load_b64 s[10:11], s[0:1], 0x90
	s_bfe_u32 s3, ttmp6, 0x40014
	s_lshr_b32 s14, ttmp7, 16
	s_add_co_i32 s3, s3, 1
	s_bfe_u32 s15, ttmp6, 0x40008
	s_mul_i32 s3, s14, s3
	s_mov_b32 s23, 0
	s_add_co_i32 s15, s15, s3
	s_cmp_eq_u32 s28, 0
	s_cselect_b32 s22, s14, s15
	s_and_b64 s[14:15], s[12:13], 0xffffffff00000000
	s_delay_alu instid0(SALU_CYCLE_1)
	s_cmp_lg_u64 s[14:15], 0
	s_cbranch_scc0 .LBB18_11
; %bb.4:
	s_ashr_i32 s14, s13, 31
	s_mov_b32 s25, s23
	s_mov_b32 s15, s14
	;; [unrolled: 1-line block ×3, first 2 shown]
	s_add_nc_u64 s[16:17], s[12:13], s[14:15]
	s_delay_alu instid0(SALU_CYCLE_1) | instskip(NEXT) | instid1(SALU_CYCLE_1)
	s_xor_b64 s[14:15], s[16:17], s[14:15]
	s_cvt_f32_u32 s3, s14
	s_cvt_f32_u32 s13, s15
	s_sub_nc_u64 s[18:19], 0, s[14:15]
	s_delay_alu instid0(SALU_CYCLE_2) | instskip(NEXT) | instid1(SALU_CYCLE_3)
	s_fmamk_f32 s3, s13, 0x4f800000, s3
	v_s_rcp_f32 s3, s3
	s_delay_alu instid0(TRANS32_DEP_1) | instskip(NEXT) | instid1(SALU_CYCLE_3)
	s_mul_f32 s3, s3, 0x5f7ffffc
	s_mul_f32 s13, s3, 0x2f800000
	s_delay_alu instid0(SALU_CYCLE_3) | instskip(NEXT) | instid1(SALU_CYCLE_3)
	s_trunc_f32 s13, s13
	s_fmamk_f32 s3, s13, 0xcf800000, s3
	s_cvt_u32_f32 s17, s13
	s_delay_alu instid0(SALU_CYCLE_2) | instskip(NEXT) | instid1(SALU_CYCLE_3)
	s_cvt_u32_f32 s16, s3
	s_mul_u64 s[26:27], s[18:19], s[16:17]
	s_delay_alu instid0(SALU_CYCLE_1)
	s_mul_hi_u32 s35, s16, s27
	s_mul_i32 s34, s16, s27
	s_mul_hi_u32 s24, s16, s26
	s_mul_i32 s13, s17, s26
	s_add_nc_u64 s[24:25], s[24:25], s[34:35]
	s_mul_hi_u32 s3, s17, s26
	s_mul_hi_u32 s29, s17, s27
	s_add_co_u32 s13, s24, s13
	s_add_co_ci_u32 s30, s25, s3
	s_mul_i32 s26, s17, s27
	s_add_co_ci_u32 s27, s29, 0
	s_delay_alu instid0(SALU_CYCLE_1) | instskip(SKIP_3) | instid1(SALU_CYCLE_1)
	s_add_nc_u64 s[24:25], s[30:31], s[26:27]
	s_mov_b32 s27, s23
	s_add_co_u32 s16, s16, s24
	s_cselect_b32 s3, -1, 0
	s_cmp_lg_u32 s3, 0
	s_add_co_ci_u32 s17, s17, s25
	s_mov_b32 s25, s23
	s_mul_u64 s[18:19], s[18:19], s[16:17]
	s_delay_alu instid0(SALU_CYCLE_1)
	s_mul_hi_u32 s31, s16, s19
	s_mul_i32 s30, s16, s19
	s_mul_hi_u32 s24, s16, s18
	s_mul_i32 s13, s17, s18
	s_add_nc_u64 s[24:25], s[24:25], s[30:31]
	s_mul_hi_u32 s3, s17, s18
	s_mul_hi_u32 s29, s17, s19
	s_add_co_u32 s13, s24, s13
	s_add_co_ci_u32 s26, s25, s3
	s_mul_i32 s18, s17, s19
	s_add_co_ci_u32 s19, s29, 0
	s_add_nc_u64 s[24:25], s[22:23], 0
	s_add_nc_u64 s[18:19], s[26:27], s[18:19]
	s_delay_alu instid0(SALU_CYCLE_1) | instskip(SKIP_1) | instid1(SALU_CYCLE_1)
	s_add_co_u32 s3, s16, s18
	s_cselect_b32 s13, -1, 0
	s_cmp_lg_u32 s13, 0
	s_add_co_ci_u32 s13, s17, s19
	s_xor_b64 s[16:17], s[24:25], 0
	s_mov_b32 s19, s23
	s_mul_hi_u32 s25, s16, s13
	s_mul_i32 s24, s16, s13
	s_mul_hi_u32 s26, s16, s3
	s_mul_hi_u32 s18, s17, s3
	s_mul_i32 s3, s17, s3
	s_add_nc_u64 s[24:25], s[26:27], s[24:25]
	s_mul_hi_u32 s29, s17, s13
	s_add_co_u32 s3, s24, s3
	s_add_co_ci_u32 s18, s25, s18
	s_mul_i32 s26, s17, s13
	s_add_co_ci_u32 s27, s29, 0
	s_delay_alu instid0(SALU_CYCLE_1) | instskip(NEXT) | instid1(SALU_CYCLE_1)
	s_add_nc_u64 s[18:19], s[18:19], s[26:27]
	s_and_b64 s[24:25], s[18:19], 0xffffffff00000000
	s_delay_alu instid0(SALU_CYCLE_1) | instskip(NEXT) | instid1(SALU_CYCLE_1)
	s_or_b32 s24, s24, s18
	s_mul_u64 s[18:19], s[14:15], s[24:25]
	s_delay_alu instid0(SALU_CYCLE_1)
	s_sub_co_u32 s3, s16, s18
	s_cselect_b32 s13, -1, 0
	s_sub_co_i32 s16, s17, s19
	s_cmp_lg_u32 s13, 0
	s_sub_co_ci_u32 s16, s16, s15
	s_sub_co_u32 s18, s3, s14
	s_cselect_b32 s24, -1, 0
	s_delay_alu instid0(SALU_CYCLE_1) | instskip(SKIP_1) | instid1(SALU_CYCLE_1)
	s_cmp_lg_u32 s24, 0
	s_sub_co_ci_u32 s25, s16, 0
	s_cmp_ge_u32 s25, s15
	s_cselect_b32 s26, -1, 0
	s_cmp_ge_u32 s18, s14
	s_cselect_b32 s27, -1, 0
	s_cmp_eq_u32 s25, s15
	s_cselect_b32 s26, s27, s26
	s_cmp_lg_u32 s24, 0
	s_sub_co_ci_u32 s16, s16, s15
	s_sub_co_u32 s24, s18, s14
	s_cselect_b32 s27, -1, 0
	s_delay_alu instid0(SALU_CYCLE_1)
	s_cmp_lg_u32 s27, 0
	s_sub_co_ci_u32 s16, s16, 0
	s_cmp_lg_u32 s26, 0
	s_cselect_b32 s18, s24, s18
	s_cselect_b32 s16, s16, s25
	s_cmp_lg_u32 s13, 0
	s_sub_co_ci_u32 s13, s17, s19
	s_delay_alu instid0(SALU_CYCLE_1)
	s_cmp_ge_u32 s13, s15
	s_cselect_b32 s17, -1, 0
	s_cmp_ge_u32 s3, s14
	s_cselect_b32 s14, -1, 0
	s_cmp_eq_u32 s13, s15
	s_cselect_b32 s14, s14, s17
	s_delay_alu instid0(SALU_CYCLE_1) | instskip(SKIP_2) | instid1(SALU_CYCLE_1)
	s_cmp_lg_u32 s14, 0
	s_cselect_b32 s15, s16, s13
	s_cselect_b32 s14, s18, s3
	s_xor_b64 s[14:15], s[14:15], 0
	s_delay_alu instid0(SALU_CYCLE_1)
	s_sub_nc_u64 s[24:25], s[14:15], 0
	s_and_not1_b32 vcc_lo, exec_lo, s23
	s_cbranch_vccnz .LBB18_6
.LBB18_5:
	v_cvt_f32_u32_e32 v1, s12
	s_sub_co_i32 s13, 0, s12
	s_mov_b32 s25, 0
	s_delay_alu instid0(VALU_DEP_1) | instskip(SKIP_1) | instid1(TRANS32_DEP_1)
	v_rcp_iflag_f32_e32 v1, v1
	v_nop
	v_mul_f32_e32 v1, 0x4f7ffffe, v1
	s_delay_alu instid0(VALU_DEP_1) | instskip(NEXT) | instid1(VALU_DEP_1)
	v_cvt_u32_f32_e32 v1, v1
	v_readfirstlane_b32 s3, v1
	s_mul_i32 s13, s13, s3
	s_delay_alu instid0(SALU_CYCLE_1) | instskip(NEXT) | instid1(SALU_CYCLE_1)
	s_mul_hi_u32 s13, s3, s13
	s_add_co_i32 s3, s3, s13
	s_delay_alu instid0(SALU_CYCLE_1) | instskip(NEXT) | instid1(SALU_CYCLE_1)
	s_mul_hi_u32 s3, s22, s3
	s_mul_i32 s3, s3, s12
	s_delay_alu instid0(SALU_CYCLE_1) | instskip(NEXT) | instid1(SALU_CYCLE_1)
	s_sub_co_i32 s3, s22, s3
	s_sub_co_i32 s13, s3, s12
	s_cmp_ge_u32 s3, s12
	s_cselect_b32 s3, s13, s3
	s_delay_alu instid0(SALU_CYCLE_1)
	s_sub_co_i32 s13, s3, s12
	s_cmp_ge_u32 s3, s12
	s_cselect_b32 s24, s13, s3
.LBB18_6:
	s_load_b64 s[26:27], s[0:1], 0xa0
	v_mov_b32_e32 v1, 1.0
	s_wait_kmcnt 0x0
	s_cmp_le_f32 s11, 0
	s_cbranch_scc1 .LBB18_8
; %bb.7:
	s_clause 0x1
	s_load_b32 s3, s[0:1], 0x28
	s_load_b64 s[12:13], s[0:1], 0x98
	s_add_co_i32 s14, s2, 1
	s_wait_kmcnt 0x0
	s_sub_co_i32 s11, s2, s3
	s_delay_alu instid0(SALU_CYCLE_1) | instskip(NEXT) | instid1(SALU_CYCLE_1)
	s_lshl_b32 s11, s11, 1
	s_or_b32 s11, s11, 1
	s_cmp_lt_u32 s2, s3
	s_cselect_b32 s3, s14, s11
	s_cselect_b32 s12, s12, s13
	s_cvt_f32_i32 s3, s3
	s_cmp_neq_f32 s12, 1.0
	s_delay_alu instid0(SALU_CYCLE_2) | instskip(NEXT) | instid1(SALU_CYCLE_1)
	s_cselect_b32 s11, s3, 1.0
	s_cmp_neq_f32 s11, 0
	s_cselect_b32 s3, s12, 1.0
	s_delay_alu instid0(SALU_CYCLE_1) | instskip(NEXT) | instid1(VALU_DEP_1)
	v_cvt_f64_f32_e64 v[2:3], |s3|
	v_frexp_exp_i32_f64_e32 v1, v[2:3]
	v_frexp_mant_f32_e64 v2, |s3|
	s_delay_alu instid0(VALU_DEP_1) | instskip(SKIP_2) | instid1(SALU_CYCLE_1)
	v_readfirstlane_b32 s12, v2
	s_cmp_lt_f32 s12, 0x3f2aaaab
	s_cselect_b32 vcc_lo, -1, 0
	s_and_b32 s13, vcc_lo, exec_lo
	s_cselect_b32 s13, 2.0, 1.0
	s_delay_alu instid0(SALU_CYCLE_1) | instskip(NEXT) | instid1(SALU_CYCLE_3)
	s_mul_f32 s12, s12, s13
	s_add_f32 s13, s12, 1.0
	s_add_f32 s15, s12, -1.0
	s_delay_alu instid0(SALU_CYCLE_2) | instskip(SKIP_2) | instid1(SALU_CYCLE_2)
	v_s_rcp_f32 s14, s13
	s_add_f32 s18, s13, -1.0
	v_subrev_co_ci_u32_e64 v1, null, 0, v1, vcc_lo
	s_sub_f32 s12, s12, s18
	s_delay_alu instid0(TRANS32_DEP_1) | instskip(SKIP_1) | instid1(SALU_CYCLE_2)
	s_mul_f32 s16, s15, s14
	v_cvt_f32_i32_e32 v1, v1
	s_mul_f32 s17, s13, s16
	s_delay_alu instid0(SALU_CYCLE_3) | instskip(SKIP_1) | instid1(SALU_CYCLE_1)
	v_dual_mov_b32 v3, s15 :: v_dual_mov_b32 v4, s17
	s_xor_b32 s19, s17, 0x80000000
	s_fmac_f32 s19, s16, s13
	s_delay_alu instid0(SALU_CYCLE_3) | instskip(NEXT) | instid1(SALU_CYCLE_3)
	s_fmac_f32 s19, s16, s12
	s_add_f32 s12, s17, s19
	v_mov_b32_e32 v6, s19
	s_mov_b32 s17, 0x3e76c4e1
	s_delay_alu instid0(SALU_CYCLE_1) | instskip(SKIP_1) | instid1(SALU_CYCLE_2)
	s_sub_f32 s13, s15, s12
	v_dual_mov_b32 v2, s12 :: v_dual_mov_b32 v7, s12
	v_mov_b32_e32 v5, s13
	s_delay_alu instid0(VALU_DEP_1) | instskip(NEXT) | instid1(VALU_DEP_1)
	v_pk_add_f32 v[2:3], v[2:3], v[4:5] neg_lo:[0,1] neg_hi:[0,1]
	v_pk_add_f32 v[2:3], v[2:3], v[6:7] neg_lo:[0,1] neg_hi:[0,1]
	s_delay_alu instid0(VALU_DEP_1) | instskip(NEXT) | instid1(VALU_DEP_2)
	v_readfirstlane_b32 s12, v3
	v_readfirstlane_b32 s15, v2
	s_add_f32 s12, s15, s12
	s_delay_alu instid0(SALU_CYCLE_3) | instskip(NEXT) | instid1(SALU_CYCLE_3)
	s_add_f32 s12, s13, s12
	s_mul_f32 s13, s14, s12
	s_delay_alu instid0(SALU_CYCLE_3) | instskip(NEXT) | instid1(SALU_CYCLE_3)
	s_add_f32 s12, s16, s13
	s_sub_f32 s14, s12, s16
	s_mul_f32 s15, s12, s12
	s_delay_alu instid0(SALU_CYCLE_2) | instskip(NEXT) | instid1(SALU_CYCLE_2)
	s_sub_f32 s16, s13, s14
	s_xor_b32 s13, s15, 0x80000000
	s_delay_alu instid0(SALU_CYCLE_1) | instskip(NEXT) | instid1(SALU_CYCLE_1)
	s_fmac_f32 s13, s12, s12
	s_add_f32 s14, s16, s16
	s_delay_alu instid0(SALU_CYCLE_3) | instskip(NEXT) | instid1(SALU_CYCLE_3)
	s_fmac_f32 s13, s12, s14
	s_add_f32 s14, s15, s13
	s_delay_alu instid0(SALU_CYCLE_3) | instskip(SKIP_1) | instid1(SALU_CYCLE_2)
	s_fmaak_f32 s17, s14, s17, 0x3e91f4c4
	s_sub_f32 s15, s14, s15
	s_fmaak_f32 s17, s14, s17, 0x3ecccdef
	s_delay_alu instid0(SALU_CYCLE_2) | instskip(NEXT) | instid1(SALU_CYCLE_2)
	s_sub_f32 s23, s13, s15
	s_mul_f32 s18, s14, s17
	s_delay_alu instid0(SALU_CYCLE_3) | instskip(NEXT) | instid1(SALU_CYCLE_1)
	s_xor_b32 s19, s18, 0x80000000
	s_fmac_f32 s19, s14, s17
	s_delay_alu instid0(SALU_CYCLE_3) | instskip(NEXT) | instid1(SALU_CYCLE_3)
	s_fmac_f32 s19, s23, s17
	s_add_f32 s15, s18, s19
	s_delay_alu instid0(SALU_CYCLE_3) | instskip(SKIP_1) | instid1(SALU_CYCLE_2)
	s_sub_f32 s13, s15, s18
	s_add_f32 s17, s15, 0x3f2aaaaa
	s_sub_f32 s13, s19, s13
	s_delay_alu instid0(SALU_CYCLE_2) | instskip(NEXT) | instid1(SALU_CYCLE_2)
	s_add_f32 s18, s17, 0xbf2aaaaa
	s_add_f32 s13, s13, 0x31739010
	s_delay_alu instid0(SALU_CYCLE_2) | instskip(NEXT) | instid1(SALU_CYCLE_2)
	s_sub_f32 s15, s15, s18
	v_mov_b64_e32 v[2:3], s[12:13]
	s_delay_alu instid0(SALU_CYCLE_2) | instskip(NEXT) | instid1(VALU_DEP_1)
	v_mov_b64_e32 v[4:5], s[14:15]
	v_pk_mul_f32 v[6:7], v[2:3], v[4:5]
	v_pk_add_f32 v[2:3], v[2:3], v[4:5]
	v_mov_b32_e32 v9, s17
	s_delay_alu instid0(VALU_DEP_3) | instskip(NEXT) | instid1(VALU_DEP_3)
	v_xor_b32_e32 v8, 0x80000000, v6
	v_mov_b32_e32 v7, v3
	s_delay_alu instid0(VALU_DEP_2) | instskip(NEXT) | instid1(VALU_DEP_1)
	v_fmac_f32_e64 v8, s14, s12
	v_fmac_f32_e64 v8, s14, s16
	s_delay_alu instid0(VALU_DEP_1) | instskip(NEXT) | instid1(VALU_DEP_1)
	v_fmac_f32_e64 v8, s23, s12
	v_pk_add_f32 v[4:5], v[6:7], v[8:9]
	s_delay_alu instid0(VALU_DEP_1) | instskip(SKIP_1) | instid1(VALU_DEP_2)
	v_dual_mov_b32 v2, v5 :: v_dual_sub_f32 v7, s17, v5
	v_mul_f32_e32 v12, 0x3f317218, v1
	v_pk_mul_f32 v[10:11], v[4:5], v[2:3]
	s_delay_alu instid0(VALU_DEP_3) | instskip(NEXT) | instid1(VALU_DEP_3)
	v_add_f32_e32 v3, v3, v7
	v_xor_b32_e32 v7, 0x80000000, v12
	s_delay_alu instid0(VALU_DEP_3) | instskip(NEXT) | instid1(VALU_DEP_2)
	v_xor_b32_e32 v2, 0x80000000, v10
	v_dual_sub_f32 v6, v4, v6 :: v_dual_fmac_f32 v7, 0x3f317218, v1
	s_delay_alu instid0(VALU_DEP_2) | instskip(NEXT) | instid1(VALU_DEP_2)
	v_fmac_f32_e32 v2, v4, v5
	v_sub_f32_e32 v6, v8, v6
	s_delay_alu instid0(VALU_DEP_2) | instskip(NEXT) | instid1(VALU_DEP_1)
	v_fmac_f32_e32 v2, v4, v3
	v_fmac_f32_e32 v2, v6, v5
	v_fmamk_f32 v4, v1, 0xb102e308, v7
	v_ldexp_f32 v5, s12, 1
	v_ldexp_f32 v1, s16, 1
	s_delay_alu instid0(VALU_DEP_2) | instskip(NEXT) | instid1(VALU_DEP_1)
	v_dual_add_f32 v13, v10, v2 :: v_dual_mov_b32 v11, v5
	v_pk_add_f32 v[6:7], v[12:13], v[4:5]
	v_dual_mov_b32 v8, v13 :: v_dual_mov_b32 v3, v13
	s_delay_alu instid0(VALU_DEP_2) | instskip(SKIP_1) | instid1(VALU_DEP_2)
	v_dual_mov_b32 v9, v7 :: v_dual_mov_b32 v5, v6
	v_mov_b32_e32 v14, v7
	v_pk_add_f32 v[8:9], v[8:9], v[10:11] neg_lo:[0,1] neg_hi:[0,1]
	s_delay_alu instid0(VALU_DEP_1) | instskip(NEXT) | instid1(VALU_DEP_1)
	v_pk_add_f32 v[2:3], v[2:3], v[8:9] neg_lo:[0,1] neg_hi:[0,1]
	v_add_f32_e32 v1, v1, v2
	s_delay_alu instid0(VALU_DEP_1) | instskip(NEXT) | instid1(VALU_DEP_1)
	v_add_f32_e32 v13, v1, v3
	v_pk_add_f32 v[2:3], v[6:7], v[12:13]
	v_pk_add_f32 v[8:9], v[6:7], v[12:13] neg_lo:[0,1] neg_hi:[0,1]
	s_delay_alu instid0(VALU_DEP_2) | instskip(NEXT) | instid1(VALU_DEP_1)
	v_mov_b32_e32 v9, v3
	v_pk_add_f32 v[10:11], v[4:5], v[8:9]
	v_pk_add_f32 v[4:5], v[4:5], v[8:9] neg_lo:[0,1] neg_hi:[0,1]
	v_dual_mov_b32 v16, v3 :: v_dual_mov_b32 v5, v6
	s_delay_alu instid0(VALU_DEP_3) | instskip(NEXT) | instid1(VALU_DEP_3)
	v_dual_mov_b32 v12, v11 :: v_dual_mov_b32 v17, v11
	v_readfirstlane_b32 s12, v4
	s_delay_alu instid0(VALU_DEP_2) | instskip(NEXT) | instid1(VALU_DEP_2)
	v_pk_add_f32 v[8:9], v[12:13], v[6:7] neg_lo:[0,1] neg_hi:[0,1]
	v_dual_mov_b32 v4, v13 :: v_dual_mov_b32 v10, s12
	s_delay_alu instid0(VALU_DEP_2) | instskip(NEXT) | instid1(VALU_DEP_1)
	v_dual_mov_b32 v15, v8 :: v_dual_mov_b32 v1, v8
	v_pk_add_f32 v[6:7], v[16:17], v[14:15] neg_lo:[0,1] neg_hi:[0,1]
	s_delay_alu instid0(VALU_DEP_2) | instskip(SKIP_1) | instid1(VALU_DEP_3)
	v_pk_add_f32 v[2:3], v[2:3], v[0:1] neg_lo:[0,1] neg_hi:[0,1]
	v_mov_b32_e32 v2, s12
	v_pk_add_f32 v[4:5], v[4:5], v[6:7] neg_lo:[0,1] neg_hi:[0,1]
	s_delay_alu instid0(VALU_DEP_1) | instskip(NEXT) | instid1(VALU_DEP_1)
	v_pk_add_f32 v[2:3], v[2:3], v[4:5]
	v_readfirstlane_b32 s13, v2
	s_delay_alu instid0(VALU_DEP_2) | instskip(NEXT) | instid1(VALU_DEP_1)
	v_mov_b32_e32 v6, v3
	v_pk_add_f32 v[6:7], v[2:3], v[6:7]
	s_delay_alu instid0(VALU_DEP_3) | instskip(NEXT) | instid1(VALU_DEP_2)
	v_mov_b32_e32 v2, s13
	v_pk_add_f32 v[8:9], v[12:13], v[6:7]
	v_mov_b32_e32 v5, v6
	s_delay_alu instid0(VALU_DEP_2) | instskip(NEXT) | instid1(VALU_DEP_1)
	v_readfirstlane_b32 s14, v8
	v_mov_b32_e32 v3, s14
	s_delay_alu instid0(VALU_DEP_1) | instskip(NEXT) | instid1(VALU_DEP_1)
	v_pk_add_f32 v[2:3], v[2:3], v[10:11] neg_lo:[0,1] neg_hi:[0,1]
	v_readfirstlane_b32 s15, v2
	s_delay_alu instid0(VALU_DEP_2) | instskip(SKIP_1) | instid1(VALU_DEP_1)
	v_pk_add_f32 v[2:3], v[4:5], v[2:3] neg_lo:[0,1] neg_hi:[0,1]
	s_sub_f32 s13, s13, s15
	v_readfirstlane_b32 s15, v2
	s_delay_alu instid0(SALU_CYCLE_2) | instskip(SKIP_1) | instid1(SALU_CYCLE_2)
	s_sub_f32 s12, s12, s13
	v_readfirstlane_b32 s13, v3
	s_add_f32 s12, s15, s12
	s_delay_alu instid0(SALU_CYCLE_3) | instskip(NEXT) | instid1(SALU_CYCLE_3)
	s_add_f32 s12, s12, s13
	s_add_f32 s13, s14, s12
	s_delay_alu instid0(SALU_CYCLE_3) | instskip(SKIP_1) | instid1(SALU_CYCLE_2)
	s_mul_f32 s15, s11, s13
	s_sub_f32 s14, s13, s14
	s_xor_b32 s16, s15, 0x80000000
	s_delay_alu instid0(SALU_CYCLE_2) | instskip(SKIP_1) | instid1(SALU_CYCLE_3)
	s_sub_f32 s12, s12, s14
	s_fmac_f32 s16, s11, s13
	s_fmac_f32 s16, s11, s12
	v_cmp_class_f32_e64 s12, s15, 0x204
	s_delay_alu instid0(SALU_CYCLE_2) | instskip(SKIP_1) | instid1(SALU_CYCLE_2)
	s_add_f32 s13, s15, s16
	s_and_b32 s12, s12, exec_lo
	s_sub_f32 s12, s13, s15
	s_cselect_b32 s13, s15, s13
	s_delay_alu instid0(SALU_CYCLE_1) | instskip(NEXT) | instid1(SALU_CYCLE_1)
	s_and_b32 s14, s13, 0x7fffffff
	s_sub_f32 s12, s16, s12
	s_cmp_neq_f32 s14, 0x7f800000
	s_delay_alu instid0(SALU_CYCLE_2) | instskip(SKIP_2) | instid1(SALU_CYCLE_1)
	s_cselect_b32 s12, s12, 0
	s_cmp_eq_f32 s13, 0x42b17218
	s_cselect_b32 s14, 0x37000000, 0
	s_sub_f32 s13, s13, s14
	s_add_f32 s12, s14, s12
	s_delay_alu instid0(SALU_CYCLE_2) | instskip(NEXT) | instid1(SALU_CYCLE_3)
	s_mul_f32 s15, s13, 0x3fb8aa3b
	s_xor_b32 s16, s15, 0x80000000
	s_rndne_f32 s17, s15
	s_fmamk_f32 s16, s13, 0x3fb8aa3b, s16
	s_cmp_nlt_f32 s13, 0xc2ce8ed0
	s_delay_alu instid0(SALU_CYCLE_1) | instskip(NEXT) | instid1(SALU_CYCLE_1)
	s_sub_f32 s15, s15, s17
	s_fmamk_f32 s16, s13, 0x32a5705f, s16
	s_cselect_b32 vcc_lo, -1, 0
	s_cmp_ngt_f32 s13, 0x42b17218
	s_trunc_f32 s13, s11
	s_add_f32 s15, s15, s16
	s_cvt_i32_f32 s16, s17
	s_delay_alu instid0(SALU_CYCLE_2)
	v_s_exp_f32 s15, s15
	v_nop
	s_delay_alu instid0(TRANS32_DEP_1) | instid1(SALU_CYCLE_1)
	v_ldexp_f32 v1, s15, s16
	s_mul_f32 s15, s11, 0.5
	s_delay_alu instid0(VALU_DEP_1) | instskip(SKIP_3) | instid1(VALU_DEP_1)
	v_cndmask_b32_e32 v1, 0, v1, vcc_lo
	s_cselect_b32 vcc_lo, -1, 0
	s_cmp_eq_f32 s13, s11
	s_trunc_f32 s16, s15
	v_cndmask_b32_e32 v1, 0x7f800000, v1, vcc_lo
	s_cselect_b32 s17, -1, 0
	s_delay_alu instid0(SALU_CYCLE_1) | instskip(NEXT) | instid1(VALU_DEP_1)
	s_cmp_neq_f32 s16, s15
	v_fma_f32 v2, s12, v1, v1
	v_cmp_class_f32_e64 vcc_lo, v1, 0x204
	s_cselect_b32 s14, -1, 0
	s_delay_alu instid0(SALU_CYCLE_1)
	s_and_b32 s12, s17, s14
	v_cndmask_b32_e32 v1, v2, v1, vcc_lo
	s_and_b32 s14, s12, exec_lo
	s_cselect_b32 s14, s3, 1.0
	s_cmp_eq_f32 s13, s11
	v_cmp_class_f32_e64 s13, s3, 0x204
	v_bfi_b32 v1, 0x7fffffff, v1, s14
	s_cselect_b32 vcc_lo, -1, 0
	s_cmp_lt_f32 s3, 0
	s_delay_alu instid0(VALU_DEP_1) | instskip(SKIP_2) | instid1(VALU_DEP_1)
	v_cndmask_b32_e32 v2, 0x7fc00000, v1, vcc_lo
	s_cselect_b32 vcc_lo, -1, 0
	s_cmp_eq_f32 s3, 0
	v_cndmask_b32_e32 v1, v1, v2, vcc_lo
	s_cselect_b32 s14, -1, 0
	s_delay_alu instid0(SALU_CYCLE_1) | instskip(SKIP_2) | instid1(SALU_CYCLE_1)
	s_or_b32 vcc_lo, s14, s13
	s_cmp_lt_f32 s11, 0
	s_cselect_b32 s11, -1, 0
	s_xor_b32 s11, s11, s14
	s_delay_alu instid0(SALU_CYCLE_1)
	s_and_b32 s11, s11, exec_lo
	s_cselect_b32 s11, 0, 0x7f800000
	s_and_b32 s12, s12, exec_lo
	s_cselect_b32 s12, s3, 0
	s_cmp_o_f32 s3, s3
	v_mov_b32_e32 v2, s12
	s_delay_alu instid0(VALU_DEP_1) | instskip(NEXT) | instid1(VALU_DEP_1)
	v_bfi_b32 v2, 0x7fffffff, s11, v2
	v_cndmask_b32_e32 v1, v1, v2, vcc_lo
	s_cselect_b32 vcc_lo, -1, 0
	s_delay_alu instid0(VALU_DEP_1)
	v_cndmask_b32_e32 v1, 0x7fc00000, v1, vcc_lo
.LBB18_8:
	s_load_b256 s[12:19], s[0:1], 0x0
	s_wait_kmcnt 0x0
	s_cmp_lg_u64 s[16:17], 0
	s_cselect_b32 s3, -1, 0
	s_cmp_eq_u64 s[16:17], 0
	s_cbranch_scc1 .LBB18_12
; %bb.9:
	s_load_b32 s11, s[16:17], s2 offset:0x0 scale_offset
	s_branch .LBB18_13
.LBB18_10:
                                        ; implicit-def: $sgpr20_sgpr21
	s_branch .LBB18_2
.LBB18_11:
                                        ; implicit-def: $sgpr24_sgpr25
	s_branch .LBB18_5
.LBB18_12:
	s_mov_b32 s11, 0xff800000
.LBB18_13:
	s_bfe_u32 s0, ttmp6, 0x4000c
	s_and_b32 s1, ttmp6, 15
	s_add_co_i32 s0, s0, 1
	s_mul_i32 s22, s27, s22
	s_mul_i32 s0, ttmp9, s0
	v_mov_b32_e32 v8, 0
	s_add_co_i32 s1, s1, s0
	s_cmp_eq_u32 s28, 0
	s_cselect_b32 s0, ttmp9, s1
	s_add_co_i32 s1, s22, s2
	s_delay_alu instid0(SALU_CYCLE_1) | instskip(NEXT) | instid1(SALU_CYCLE_1)
	s_mul_i32 s1, s1, s26
	s_add_co_i32 s22, s1, s0
	s_mov_b32 s1, 0
	s_ashr_i32 s23, s22, 31
	s_delay_alu instid0(SALU_CYCLE_1)
	s_lshl_b64 s[26:27], s[22:23], 10
	s_cmp_eq_u64 s[14:15], 0
	s_add_nc_u64 s[12:13], s[12:13], s[26:27]
	global_load_b32 v2, v0, s[12:13] scale_offset
	s_wait_xcnt 0x0
	s_cselect_b32 s12, -1, 0
	s_cmp_lg_u64 s[14:15], 0
	s_cbranch_scc0 .LBB18_15
; %bb.14:
	s_mul_u64 s[0:1], s[4:5], s[0:1]
	s_mul_u64 s[4:5], s[20:21], s[6:7]
	;; [unrolled: 1-line block ×3, first 2 shown]
	s_add_nc_u64 s[0:1], s[4:5], s[0:1]
	s_delay_alu instid0(SALU_CYCLE_1) | instskip(NEXT) | instid1(SALU_CYCLE_1)
	s_add_nc_u64 s[0:1], s[0:1], s[6:7]
	s_lshr_b64 s[0:1], s[0:1], 2
	s_and_b32 s4, s12, exec_lo
	s_cselect_b32 s1, 0, s1
	s_cselect_b32 s0, 0, s0
	s_delay_alu instid0(SALU_CYCLE_1) | instskip(NEXT) | instid1(SALU_CYCLE_1)
	s_lshl_b64 s[0:1], s[0:1], 2
	s_add_nc_u64 s[0:1], s[14:15], s[0:1]
	global_load_b32 v3, v0, s[0:1] scale_offset
	s_wait_loadcnt 0x0
	v_mul_f32_e32 v8, v1, v3
.LBB18_15:
	v_mbcnt_lo_u32_b32 v1, -1, 0
	s_wait_loadcnt 0x0
	s_delay_alu instid0(VALU_DEP_2) | instskip(SKIP_3) | instid1(VALU_DEP_2)
	v_fmac_f32_e32 v8, s10, v2
	s_wait_kmcnt 0x0
	v_max_num_f32_e64 v2, s11, s11
	v_xor_b32_e32 v3, 16, v1
	v_dual_max_num_f32 v4, v2, v8 :: v_dual_bitop2_b32 v5, 8, v1 bitop3:0x14
	s_delay_alu instid0(VALU_DEP_2) | instskip(SKIP_1) | instid1(VALU_DEP_3)
	v_cmp_gt_i32_e32 vcc_lo, 32, v3
	v_cndmask_b32_e32 v3, v1, v3, vcc_lo
	v_cmp_gt_i32_e32 vcc_lo, 32, v5
	s_delay_alu instid0(VALU_DEP_2) | instskip(SKIP_3) | instid1(VALU_DEP_1)
	v_lshlrev_b32_e32 v2, 2, v3
	ds_bpermute_b32 v3, v2, v4
	s_wait_dscnt 0x0
	v_dual_cndmask_b32 v5, v1, v5 :: v_dual_max_num_f32 v6, v3, v3
	v_dual_lshlrev_b32 v3, 2, v5 :: v_dual_max_num_f32 v5, v4, v6
	ds_bpermute_b32 v4, v3, v5
	s_wait_dscnt 0x0
	v_dual_max_num_f32 v7, v4, v4 :: v_dual_bitop2_b32 v6, 4, v1 bitop3:0x14
	s_delay_alu instid0(VALU_DEP_1) | instskip(SKIP_1) | instid1(VALU_DEP_1)
	v_cmp_gt_i32_e32 vcc_lo, 32, v6
	v_cndmask_b32_e32 v6, v1, v6, vcc_lo
	v_dual_lshlrev_b32 v4, 2, v6 :: v_dual_max_num_f32 v6, v5, v7
	v_xor_b32_e32 v7, 2, v1
	ds_bpermute_b32 v5, v4, v6
	v_cmp_gt_i32_e32 vcc_lo, 32, v7
	s_wait_dscnt 0x0
	v_max_num_f32_e32 v9, v5, v5
	s_delay_alu instid0(VALU_DEP_1) | instskip(NEXT) | instid1(VALU_DEP_1)
	v_dual_cndmask_b32 v7, v1, v7 :: v_dual_max_num_f32 v6, v6, v9
	v_lshlrev_b32_e32 v5, 2, v7
	ds_bpermute_b32 v7, v5, v6
	s_wait_dscnt 0x0
	v_dual_max_num_f32 v7, v7, v7 :: v_dual_bitop2_b32 v9, 1, v1 bitop3:0x14
	s_delay_alu instid0(VALU_DEP_1) | instskip(NEXT) | instid1(VALU_DEP_2)
	v_cmp_gt_i32_e32 vcc_lo, 32, v9
	v_dual_max_num_f32 v10, v6, v7 :: v_dual_cndmask_b32 v1, v1, v9
	v_dual_lshrrev_b32 v7, 3, v0 :: v_dual_bitop2_b32 v9, 31, v0 bitop3:0x40
	s_delay_alu instid0(VALU_DEP_2) | instskip(SKIP_1) | instid1(VALU_DEP_3)
	v_lshlrev_b32_e32 v6, 2, v1
	v_lshl_add_u32 v1, v0, 2, 0
	v_cmp_eq_u32_e32 vcc_lo, 0, v9
	ds_bpermute_b32 v11, v6, v10
	ds_store_b32 v1, v8 offset:128
	s_and_saveexec_b32 s0, vcc_lo
	s_delay_alu instid0(SALU_CYCLE_1)
	s_xor_b32 s0, exec_lo, s0
	s_cbranch_execz .LBB18_17
; %bb.16:
	s_wait_dscnt 0x1
	v_dual_max_num_f32 v8, v11, v11 :: v_dual_max_num_f32 v10, v10, v10
	s_delay_alu instid0(VALU_DEP_1)
	v_dual_max_num_f32 v8, v10, v8 :: v_dual_add_nc_u32 v10, 0, v7
	ds_store_b32 v10, v8
.LBB18_17:
	s_or_b32 exec_lo, exec_lo, s0
	v_cmp_gt_u32_e64 s0, 8, v9
	v_mov_b32_e32 v10, 0xff800000
	v_lshl_add_u32 v8, v9, 2, 0
	s_wait_dscnt 0x0
	s_barrier_signal -1
	s_barrier_wait -1
	s_and_saveexec_b32 s1, s0
; %bb.18:
	ds_load_b32 v10, v8
; %bb.19:
	s_or_b32 exec_lo, exec_lo, s1
	s_wait_dscnt 0x0
	ds_bpermute_b32 v9, v2, v10
	v_max_num_f32_e32 v10, v10, v10
	ds_load_b32 v11, v1 offset:128
	s_wait_dscnt 0x1
	v_max_num_f32_e32 v9, v9, v9
	s_delay_alu instid0(VALU_DEP_1) | instskip(SKIP_3) | instid1(VALU_DEP_1)
	v_max_num_f32_e32 v9, v10, v9
	ds_bpermute_b32 v10, v3, v9
	s_wait_dscnt 0x0
	v_max_num_f32_e32 v10, v10, v10
	v_max_num_f32_e32 v9, v9, v10
	ds_bpermute_b32 v10, v4, v9
	s_wait_dscnt 0x0
	v_max_num_f32_e32 v10, v10, v10
	s_delay_alu instid0(VALU_DEP_1) | instskip(SKIP_3) | instid1(VALU_DEP_1)
	v_max_num_f32_e32 v9, v9, v10
	ds_bpermute_b32 v10, v5, v9
	s_wait_dscnt 0x0
	v_max_num_f32_e32 v10, v10, v10
	v_max_num_f32_e32 v9, v9, v10
	ds_bpermute_b32 v10, v6, v9
	s_wait_dscnt 0x0
	v_max_num_f32_e32 v10, v10, v10
	s_delay_alu instid0(VALU_DEP_1) | instskip(NEXT) | instid1(VALU_DEP_1)
	v_max_num_f32_e32 v9, v9, v10
	v_sub_f32_e32 v10, v11, v9
	s_delay_alu instid0(VALU_DEP_1) | instskip(NEXT) | instid1(VALU_DEP_1)
	v_mul_f32_e32 v11, 0x3fb8aa3b, v10
	v_fma_f32 v12, 0x3fb8aa3b, v10, -v11
	v_rndne_f32_e32 v13, v11
	s_delay_alu instid0(VALU_DEP_1) | instskip(NEXT) | instid1(VALU_DEP_1)
	v_dual_fmamk_f32 v12, v10, 0x32a5705f, v12 :: v_dual_sub_f32 v11, v11, v13
	v_add_f32_e32 v11, v11, v12
	v_cvt_i32_f32_e32 v12, v13
	v_cmp_ngt_f32_e64 s1, 0xc2ce8ed0, v10
	s_delay_alu instid0(VALU_DEP_3) | instskip(SKIP_1) | instid1(TRANS32_DEP_1)
	v_exp_f32_e32 v11, v11
	v_nop
	v_ldexp_f32 v11, v11, v12
	s_delay_alu instid0(VALU_DEP_1) | instskip(SKIP_1) | instid1(VALU_DEP_1)
	v_cndmask_b32_e64 v11, 0, v11, s1
	v_cmp_nlt_f32_e64 s1, 0x42b17218, v10
	v_cndmask_b32_e64 v12, 0x7f800000, v11, s1
	ds_bpermute_b32 v10, v2, v12
	ds_store_b32 v1, v12 offset:128
	s_wait_dscnt 0x1
	v_add_f32_e32 v10, v12, v10
	ds_bpermute_b32 v11, v3, v10
	s_wait_dscnt 0x0
	v_add_f32_e32 v10, v10, v11
	ds_bpermute_b32 v11, v4, v10
	;; [unrolled: 3-line block ×4, first 2 shown]
	s_and_saveexec_b32 s1, vcc_lo
	s_cbranch_execz .LBB18_21
; %bb.20:
	s_wait_dscnt 0x0
	v_add_f32_e32 v10, v10, v11
	v_add_nc_u32_e32 v7, 0, v7
	ds_store_b32 v7, v10
.LBB18_21:
	s_or_b32 exec_lo, exec_lo, s1
	v_mov_b32_e32 v7, 0
	s_wait_dscnt 0x0
	s_barrier_signal -1
	s_barrier_wait -1
	s_and_saveexec_b32 s1, s0
; %bb.22:
	ds_load_b32 v7, v8
; %bb.23:
	s_or_b32 exec_lo, exec_lo, s1
	s_wait_dscnt 0x0
	ds_bpermute_b32 v2, v2, v7
	s_and_not1_b32 vcc_lo, exec_lo, s3
	s_lshl_b64 s[0:1], s[22:23], 8
	s_wait_dscnt 0x0
	v_add_f32_e32 v2, v7, v2
	ds_bpermute_b32 v3, v3, v2
	s_wait_dscnt 0x0
	v_add_f32_e32 v2, v2, v3
	ds_bpermute_b32 v3, v4, v2
	;; [unrolled: 3-line block ×4, first 2 shown]
	s_wait_dscnt 0x0
	v_add_f32_e32 v2, v2, v3
	s_cbranch_vccnz .LBB18_25
; %bb.24:
	s_load_b32 s2, s[16:17], s2 offset:0x0 scale_offset
	s_wait_kmcnt 0x0
	v_sub_f32_e32 v3, s2, v9
	s_delay_alu instid0(VALU_DEP_1) | instskip(NEXT) | instid1(VALU_DEP_1)
	v_mul_f32_e32 v4, 0x3fb8aa3b, v3
	v_fma_f32 v5, 0x3fb8aa3b, v3, -v4
	v_rndne_f32_e32 v6, v4
	s_delay_alu instid0(VALU_DEP_1) | instskip(SKIP_1) | instid1(VALU_DEP_4)
	v_sub_f32_e32 v4, v4, v6
	v_cmp_ngt_f32_e32 vcc_lo, 0xc2ce8ed0, v3
	v_fmamk_f32 v5, v3, 0x32a5705f, v5
	s_delay_alu instid0(VALU_DEP_1) | instskip(SKIP_1) | instid1(VALU_DEP_2)
	v_add_f32_e32 v4, v4, v5
	v_cvt_i32_f32_e32 v5, v6
	v_exp_f32_e32 v4, v4
	v_nop
	s_delay_alu instid0(TRANS32_DEP_1) | instskip(NEXT) | instid1(VALU_DEP_1)
	v_ldexp_f32 v4, v4, v5
	v_cndmask_b32_e32 v4, 0, v4, vcc_lo
	v_cmp_nlt_f32_e32 vcc_lo, 0x42b17218, v3
	s_delay_alu instid0(VALU_DEP_2) | instskip(NEXT) | instid1(VALU_DEP_1)
	v_cndmask_b32_e32 v3, 0x7f800000, v4, vcc_lo
	v_add_f32_e32 v2, v2, v3
.LBB18_25:
	s_delay_alu instid0(VALU_DEP_1) | instskip(SKIP_4) | instid1(SALU_CYCLE_1)
	v_div_scale_f32 v3, null, v2, v2, 1.0
	v_div_scale_f32 v6, vcc_lo, 1.0, v2, 1.0
	ds_load_b32 v1, v1 offset:128
	v_rcp_f32_e32 v4, v3
	s_lshl_b64 s[0:1], s[0:1], 2
	s_add_nc_u64 s[0:1], s[18:19], s[0:1]
	v_nop
	s_delay_alu instid0(TRANS32_DEP_1) | instskip(NEXT) | instid1(VALU_DEP_1)
	v_fma_f32 v5, -v3, v4, 1.0
	v_fmac_f32_e32 v4, v5, v4
	s_delay_alu instid0(VALU_DEP_1) | instskip(NEXT) | instid1(VALU_DEP_1)
	v_mul_f32_e32 v5, v6, v4
	v_fma_f32 v7, -v3, v5, v6
	s_delay_alu instid0(VALU_DEP_1) | instskip(NEXT) | instid1(VALU_DEP_1)
	v_fmac_f32_e32 v5, v7, v4
	v_fma_f32 v3, -v3, v5, v6
	s_delay_alu instid0(VALU_DEP_1) | instskip(NEXT) | instid1(VALU_DEP_1)
	v_div_fmas_f32 v3, v3, v4, v5
	v_div_fixup_f32 v2, v3, v2, 1.0
	s_wait_dscnt 0x0
	s_delay_alu instid0(VALU_DEP_1)
	v_mul_f32_e32 v1, v2, v1
	global_store_b32 v0, v1, s[0:1] scale_offset
	s_endpgm
	.section	.rodata,"a",@progbits
	.p2align	6, 0x0
	.amdhsa_kernel _ZL12soft_max_f32ILb1ELi256ELi256EfEvPKfPKT2_S1_Pf15soft_max_params
		.amdhsa_group_segment_fixed_size 0
		.amdhsa_private_segment_fixed_size 0
		.amdhsa_kernarg_size 416
		.amdhsa_user_sgpr_count 2
		.amdhsa_user_sgpr_dispatch_ptr 0
		.amdhsa_user_sgpr_queue_ptr 0
		.amdhsa_user_sgpr_kernarg_segment_ptr 1
		.amdhsa_user_sgpr_dispatch_id 0
		.amdhsa_user_sgpr_kernarg_preload_length 0
		.amdhsa_user_sgpr_kernarg_preload_offset 0
		.amdhsa_user_sgpr_private_segment_size 0
		.amdhsa_wavefront_size32 1
		.amdhsa_uses_dynamic_stack 0
		.amdhsa_enable_private_segment 0
		.amdhsa_system_sgpr_workgroup_id_x 1
		.amdhsa_system_sgpr_workgroup_id_y 1
		.amdhsa_system_sgpr_workgroup_id_z 1
		.amdhsa_system_sgpr_workgroup_info 0
		.amdhsa_system_vgpr_workitem_id 0
		.amdhsa_next_free_vgpr 18
		.amdhsa_next_free_sgpr 36
		.amdhsa_named_barrier_count 0
		.amdhsa_reserve_vcc 1
		.amdhsa_float_round_mode_32 0
		.amdhsa_float_round_mode_16_64 0
		.amdhsa_float_denorm_mode_32 3
		.amdhsa_float_denorm_mode_16_64 3
		.amdhsa_fp16_overflow 0
		.amdhsa_memory_ordered 1
		.amdhsa_forward_progress 1
		.amdhsa_inst_pref_size 35
		.amdhsa_round_robin_scheduling 0
		.amdhsa_exception_fp_ieee_invalid_op 0
		.amdhsa_exception_fp_denorm_src 0
		.amdhsa_exception_fp_ieee_div_zero 0
		.amdhsa_exception_fp_ieee_overflow 0
		.amdhsa_exception_fp_ieee_underflow 0
		.amdhsa_exception_fp_ieee_inexact 0
		.amdhsa_exception_int_div_zero 0
	.end_amdhsa_kernel
	.section	.text._ZL12soft_max_f32ILb1ELi256ELi256EfEvPKfPKT2_S1_Pf15soft_max_params,"axG",@progbits,_ZL12soft_max_f32ILb1ELi256ELi256EfEvPKfPKT2_S1_Pf15soft_max_params,comdat
.Lfunc_end18:
	.size	_ZL12soft_max_f32ILb1ELi256ELi256EfEvPKfPKT2_S1_Pf15soft_max_params, .Lfunc_end18-_ZL12soft_max_f32ILb1ELi256ELi256EfEvPKfPKT2_S1_Pf15soft_max_params
                                        ; -- End function
	.set _ZL12soft_max_f32ILb1ELi256ELi256EfEvPKfPKT2_S1_Pf15soft_max_params.num_vgpr, 18
	.set _ZL12soft_max_f32ILb1ELi256ELi256EfEvPKfPKT2_S1_Pf15soft_max_params.num_agpr, 0
	.set _ZL12soft_max_f32ILb1ELi256ELi256EfEvPKfPKT2_S1_Pf15soft_max_params.numbered_sgpr, 36
	.set _ZL12soft_max_f32ILb1ELi256ELi256EfEvPKfPKT2_S1_Pf15soft_max_params.num_named_barrier, 0
	.set _ZL12soft_max_f32ILb1ELi256ELi256EfEvPKfPKT2_S1_Pf15soft_max_params.private_seg_size, 0
	.set _ZL12soft_max_f32ILb1ELi256ELi256EfEvPKfPKT2_S1_Pf15soft_max_params.uses_vcc, 1
	.set _ZL12soft_max_f32ILb1ELi256ELi256EfEvPKfPKT2_S1_Pf15soft_max_params.uses_flat_scratch, 0
	.set _ZL12soft_max_f32ILb1ELi256ELi256EfEvPKfPKT2_S1_Pf15soft_max_params.has_dyn_sized_stack, 0
	.set _ZL12soft_max_f32ILb1ELi256ELi256EfEvPKfPKT2_S1_Pf15soft_max_params.has_recursion, 0
	.set _ZL12soft_max_f32ILb1ELi256ELi256EfEvPKfPKT2_S1_Pf15soft_max_params.has_indirect_call, 0
	.section	.AMDGPU.csdata,"",@progbits
; Kernel info:
; codeLenInByte = 4376
; TotalNumSgprs: 38
; NumVgprs: 18
; ScratchSize: 0
; MemoryBound: 0
; FloatMode: 240
; IeeeMode: 1
; LDSByteSize: 0 bytes/workgroup (compile time only)
; SGPRBlocks: 0
; VGPRBlocks: 1
; NumSGPRsForWavesPerEU: 38
; NumVGPRsForWavesPerEU: 18
; NamedBarCnt: 0
; Occupancy: 16
; WaveLimiterHint : 1
; COMPUTE_PGM_RSRC2:SCRATCH_EN: 0
; COMPUTE_PGM_RSRC2:USER_SGPR: 2
; COMPUTE_PGM_RSRC2:TRAP_HANDLER: 0
; COMPUTE_PGM_RSRC2:TGID_X_EN: 1
; COMPUTE_PGM_RSRC2:TGID_Y_EN: 1
; COMPUTE_PGM_RSRC2:TGID_Z_EN: 1
; COMPUTE_PGM_RSRC2:TIDIG_COMP_CNT: 0
	.section	.text._ZL12soft_max_f32ILb1ELi128ELi128EfEvPKfPKT2_S1_Pf15soft_max_params,"axG",@progbits,_ZL12soft_max_f32ILb1ELi128ELi128EfEvPKfPKT2_S1_Pf15soft_max_params,comdat
	.globl	_ZL12soft_max_f32ILb1ELi128ELi128EfEvPKfPKT2_S1_Pf15soft_max_params ; -- Begin function _ZL12soft_max_f32ILb1ELi128ELi128EfEvPKfPKT2_S1_Pf15soft_max_params
	.p2align	8
	.type	_ZL12soft_max_f32ILb1ELi128ELi128EfEvPKfPKT2_S1_Pf15soft_max_params,@function
_ZL12soft_max_f32ILb1ELi128ELi128EfEvPKfPKT2_S1_Pf15soft_max_params: ; @_ZL12soft_max_f32ILb1ELi128ELi128EfEvPKfPKT2_S1_Pf15soft_max_params
; %bb.0:
	s_clause 0x1
	s_load_b256 s[4:11], s[0:1], 0x68
	s_load_b64 s[12:13], s[0:1], 0x88
	s_bfe_u32 s2, ttmp6, 0x40010
	s_and_b32 s3, ttmp7, 0xffff
	s_add_co_i32 s2, s2, 1
	s_bfe_u32 s14, ttmp6, 0x40004
	s_mul_i32 s2, s3, s2
	s_getreg_b32 s28, hwreg(HW_REG_IB_STS2, 6, 4)
	s_add_co_i32 s14, s14, s2
	s_cmp_eq_u32 s28, 0
	s_cselect_b32 s2, s3, s14
	s_mov_b32 s3, 0
	s_wait_kmcnt 0x0
	s_and_b64 s[14:15], s[10:11], 0xffffffff00000000
	s_delay_alu instid0(SALU_CYCLE_1)
	s_cmp_lg_u64 s[14:15], 0
	s_cbranch_scc0 .LBB19_10
; %bb.1:
	s_ashr_i32 s14, s11, 31
	s_mov_b32 s21, s3
	s_mov_b32 s15, s14
	;; [unrolled: 1-line block ×3, first 2 shown]
	s_add_nc_u64 s[16:17], s[10:11], s[14:15]
	s_delay_alu instid0(SALU_CYCLE_1) | instskip(NEXT) | instid1(SALU_CYCLE_1)
	s_xor_b64 s[14:15], s[16:17], s[14:15]
	s_cvt_f32_u32 s11, s14
	s_cvt_f32_u32 s16, s15
	s_sub_nc_u64 s[18:19], 0, s[14:15]
	s_delay_alu instid0(SALU_CYCLE_2) | instskip(NEXT) | instid1(SALU_CYCLE_3)
	s_fmamk_f32 s11, s16, 0x4f800000, s11
	v_s_rcp_f32 s11, s11
	s_delay_alu instid0(TRANS32_DEP_1) | instskip(NEXT) | instid1(SALU_CYCLE_3)
	s_mul_f32 s11, s11, 0x5f7ffffc
	s_mul_f32 s16, s11, 0x2f800000
	s_delay_alu instid0(SALU_CYCLE_3) | instskip(NEXT) | instid1(SALU_CYCLE_3)
	s_trunc_f32 s16, s16
	s_fmamk_f32 s11, s16, 0xcf800000, s11
	s_cvt_u32_f32 s17, s16
	s_delay_alu instid0(SALU_CYCLE_2) | instskip(NEXT) | instid1(SALU_CYCLE_3)
	s_cvt_u32_f32 s16, s11
	s_mul_u64 s[22:23], s[18:19], s[16:17]
	s_delay_alu instid0(SALU_CYCLE_1)
	s_mul_hi_u32 s27, s16, s23
	s_mul_i32 s26, s16, s23
	s_mul_hi_u32 s20, s16, s22
	s_mul_i32 s24, s17, s22
	s_add_nc_u64 s[20:21], s[20:21], s[26:27]
	s_mul_hi_u32 s11, s17, s22
	s_mul_hi_u32 s29, s17, s23
	s_add_co_u32 s20, s20, s24
	s_add_co_ci_u32 s24, s21, s11
	s_mul_i32 s22, s17, s23
	s_add_co_ci_u32 s23, s29, 0
	s_delay_alu instid0(SALU_CYCLE_1) | instskip(SKIP_3) | instid1(SALU_CYCLE_1)
	s_add_nc_u64 s[20:21], s[24:25], s[22:23]
	s_mov_b32 s23, s3
	s_add_co_u32 s16, s16, s20
	s_cselect_b32 s11, -1, 0
	s_cmp_lg_u32 s11, 0
	s_add_co_ci_u32 s17, s17, s21
	s_mov_b32 s21, s3
	s_mul_u64 s[18:19], s[18:19], s[16:17]
	s_delay_alu instid0(SALU_CYCLE_1)
	s_mul_hi_u32 s25, s16, s19
	s_mul_i32 s24, s16, s19
	s_mul_hi_u32 s20, s16, s18
	s_mul_i32 s22, s17, s18
	s_add_nc_u64 s[20:21], s[20:21], s[24:25]
	s_mul_hi_u32 s11, s17, s18
	s_mul_hi_u32 s26, s17, s19
	s_mul_i32 s18, s17, s19
	s_add_co_u32 s19, s20, s22
	s_add_co_ci_u32 s22, s21, s11
	s_add_co_ci_u32 s19, s26, 0
	s_add_nc_u64 s[20:21], s[2:3], 0
	s_add_nc_u64 s[18:19], s[22:23], s[18:19]
	s_delay_alu instid0(SALU_CYCLE_1) | instskip(SKIP_1) | instid1(SALU_CYCLE_1)
	s_add_co_u32 s11, s16, s18
	s_cselect_b32 s16, -1, 0
	s_cmp_lg_u32 s16, 0
	s_add_co_ci_u32 s18, s17, s19
	s_xor_b64 s[16:17], s[20:21], 0
	s_mov_b32 s19, s3
	s_mul_hi_u32 s21, s16, s18
	s_mul_i32 s20, s16, s18
	s_mul_hi_u32 s22, s16, s11
	s_mul_hi_u32 s25, s17, s11
	s_mul_i32 s11, s17, s11
	s_add_nc_u64 s[20:21], s[22:23], s[20:21]
	s_mul_hi_u32 s24, s17, s18
	s_add_co_u32 s11, s20, s11
	s_mul_i32 s22, s17, s18
	s_add_co_ci_u32 s18, s21, s25
	s_add_co_ci_u32 s23, s24, 0
	s_delay_alu instid0(SALU_CYCLE_1) | instskip(NEXT) | instid1(SALU_CYCLE_1)
	s_add_nc_u64 s[18:19], s[18:19], s[22:23]
	s_and_b64 s[20:21], s[18:19], 0xffffffff00000000
	s_delay_alu instid0(SALU_CYCLE_1) | instskip(NEXT) | instid1(SALU_CYCLE_1)
	s_or_b32 s20, s20, s18
	s_mul_u64 s[18:19], s[14:15], s[20:21]
	s_delay_alu instid0(SALU_CYCLE_1)
	s_sub_co_u32 s11, s16, s18
	s_cselect_b32 s16, -1, 0
	s_sub_co_i32 s18, s17, s19
	s_cmp_lg_u32 s16, 0
	s_sub_co_ci_u32 s18, s18, s15
	s_sub_co_u32 s20, s11, s14
	s_cselect_b32 s21, -1, 0
	s_delay_alu instid0(SALU_CYCLE_1) | instskip(SKIP_1) | instid1(SALU_CYCLE_1)
	s_cmp_lg_u32 s21, 0
	s_sub_co_ci_u32 s22, s18, 0
	s_cmp_ge_u32 s22, s15
	s_cselect_b32 s23, -1, 0
	s_cmp_ge_u32 s20, s14
	s_cselect_b32 s24, -1, 0
	s_cmp_eq_u32 s22, s15
	s_cselect_b32 s23, s24, s23
	s_cmp_lg_u32 s21, 0
	s_sub_co_ci_u32 s18, s18, s15
	s_sub_co_u32 s21, s20, s14
	s_cselect_b32 s24, -1, 0
	s_delay_alu instid0(SALU_CYCLE_1)
	s_cmp_lg_u32 s24, 0
	s_sub_co_ci_u32 s18, s18, 0
	s_cmp_lg_u32 s23, 0
	s_cselect_b32 s20, s21, s20
	s_cselect_b32 s18, s18, s22
	s_cmp_lg_u32 s16, 0
	s_sub_co_ci_u32 s16, s17, s19
	s_delay_alu instid0(SALU_CYCLE_1)
	s_cmp_ge_u32 s16, s15
	s_cselect_b32 s17, -1, 0
	s_cmp_ge_u32 s11, s14
	s_cselect_b32 s14, -1, 0
	s_cmp_eq_u32 s16, s15
	s_cselect_b32 s14, s14, s17
	s_delay_alu instid0(SALU_CYCLE_1) | instskip(SKIP_2) | instid1(SALU_CYCLE_1)
	s_cmp_lg_u32 s14, 0
	s_cselect_b32 s15, s18, s16
	s_cselect_b32 s14, s20, s11
	s_xor_b64 s[14:15], s[14:15], 0
	s_delay_alu instid0(SALU_CYCLE_1)
	s_sub_nc_u64 s[20:21], s[14:15], 0
	s_and_not1_b32 vcc_lo, exec_lo, s3
	s_cbranch_vccnz .LBB19_3
.LBB19_2:
	v_cvt_f32_u32_e32 v1, s10
	s_sub_co_i32 s11, 0, s10
	s_mov_b32 s21, 0
	s_delay_alu instid0(VALU_DEP_1) | instskip(SKIP_1) | instid1(TRANS32_DEP_1)
	v_rcp_iflag_f32_e32 v1, v1
	v_nop
	v_mul_f32_e32 v1, 0x4f7ffffe, v1
	s_delay_alu instid0(VALU_DEP_1) | instskip(NEXT) | instid1(VALU_DEP_1)
	v_cvt_u32_f32_e32 v1, v1
	v_readfirstlane_b32 s3, v1
	s_mul_i32 s11, s11, s3
	s_delay_alu instid0(SALU_CYCLE_1) | instskip(NEXT) | instid1(SALU_CYCLE_1)
	s_mul_hi_u32 s11, s3, s11
	s_add_co_i32 s3, s3, s11
	s_delay_alu instid0(SALU_CYCLE_1) | instskip(NEXT) | instid1(SALU_CYCLE_1)
	s_mul_hi_u32 s3, s2, s3
	s_mul_i32 s3, s3, s10
	s_delay_alu instid0(SALU_CYCLE_1) | instskip(NEXT) | instid1(SALU_CYCLE_1)
	s_sub_co_i32 s3, s2, s3
	s_sub_co_i32 s11, s3, s10
	s_cmp_ge_u32 s3, s10
	s_cselect_b32 s3, s11, s3
	s_delay_alu instid0(SALU_CYCLE_1)
	s_sub_co_i32 s11, s3, s10
	s_cmp_ge_u32 s3, s10
	s_cselect_b32 s20, s11, s3
.LBB19_3:
	s_load_b64 s[10:11], s[0:1], 0x90
	s_bfe_u32 s3, ttmp6, 0x40014
	s_lshr_b32 s14, ttmp7, 16
	s_add_co_i32 s3, s3, 1
	s_bfe_u32 s15, ttmp6, 0x40008
	s_mul_i32 s3, s14, s3
	s_mov_b32 s23, 0
	s_add_co_i32 s15, s15, s3
	s_cmp_eq_u32 s28, 0
	s_cselect_b32 s22, s14, s15
	s_and_b64 s[14:15], s[12:13], 0xffffffff00000000
	s_delay_alu instid0(SALU_CYCLE_1)
	s_cmp_lg_u64 s[14:15], 0
	s_cbranch_scc0 .LBB19_11
; %bb.4:
	s_ashr_i32 s14, s13, 31
	s_mov_b32 s25, s23
	s_mov_b32 s15, s14
	;; [unrolled: 1-line block ×3, first 2 shown]
	s_add_nc_u64 s[16:17], s[12:13], s[14:15]
	s_delay_alu instid0(SALU_CYCLE_1) | instskip(NEXT) | instid1(SALU_CYCLE_1)
	s_xor_b64 s[14:15], s[16:17], s[14:15]
	s_cvt_f32_u32 s3, s14
	s_cvt_f32_u32 s13, s15
	s_sub_nc_u64 s[18:19], 0, s[14:15]
	s_delay_alu instid0(SALU_CYCLE_2) | instskip(NEXT) | instid1(SALU_CYCLE_3)
	s_fmamk_f32 s3, s13, 0x4f800000, s3
	v_s_rcp_f32 s3, s3
	s_delay_alu instid0(TRANS32_DEP_1) | instskip(NEXT) | instid1(SALU_CYCLE_3)
	s_mul_f32 s3, s3, 0x5f7ffffc
	s_mul_f32 s13, s3, 0x2f800000
	s_delay_alu instid0(SALU_CYCLE_3) | instskip(NEXT) | instid1(SALU_CYCLE_3)
	s_trunc_f32 s13, s13
	s_fmamk_f32 s3, s13, 0xcf800000, s3
	s_cvt_u32_f32 s17, s13
	s_delay_alu instid0(SALU_CYCLE_2) | instskip(NEXT) | instid1(SALU_CYCLE_3)
	s_cvt_u32_f32 s16, s3
	s_mul_u64 s[26:27], s[18:19], s[16:17]
	s_delay_alu instid0(SALU_CYCLE_1)
	s_mul_hi_u32 s35, s16, s27
	s_mul_i32 s34, s16, s27
	s_mul_hi_u32 s24, s16, s26
	s_mul_i32 s13, s17, s26
	s_add_nc_u64 s[24:25], s[24:25], s[34:35]
	s_mul_hi_u32 s3, s17, s26
	s_mul_hi_u32 s29, s17, s27
	s_add_co_u32 s13, s24, s13
	s_add_co_ci_u32 s30, s25, s3
	s_mul_i32 s26, s17, s27
	s_add_co_ci_u32 s27, s29, 0
	s_delay_alu instid0(SALU_CYCLE_1) | instskip(SKIP_3) | instid1(SALU_CYCLE_1)
	s_add_nc_u64 s[24:25], s[30:31], s[26:27]
	s_mov_b32 s27, s23
	s_add_co_u32 s16, s16, s24
	s_cselect_b32 s3, -1, 0
	s_cmp_lg_u32 s3, 0
	s_add_co_ci_u32 s17, s17, s25
	s_mov_b32 s25, s23
	s_mul_u64 s[18:19], s[18:19], s[16:17]
	s_delay_alu instid0(SALU_CYCLE_1)
	s_mul_hi_u32 s31, s16, s19
	s_mul_i32 s30, s16, s19
	s_mul_hi_u32 s24, s16, s18
	s_mul_i32 s13, s17, s18
	s_add_nc_u64 s[24:25], s[24:25], s[30:31]
	s_mul_hi_u32 s3, s17, s18
	s_mul_hi_u32 s29, s17, s19
	s_add_co_u32 s13, s24, s13
	s_add_co_ci_u32 s26, s25, s3
	s_mul_i32 s18, s17, s19
	s_add_co_ci_u32 s19, s29, 0
	s_add_nc_u64 s[24:25], s[22:23], 0
	s_add_nc_u64 s[18:19], s[26:27], s[18:19]
	s_delay_alu instid0(SALU_CYCLE_1) | instskip(SKIP_1) | instid1(SALU_CYCLE_1)
	s_add_co_u32 s3, s16, s18
	s_cselect_b32 s13, -1, 0
	s_cmp_lg_u32 s13, 0
	s_add_co_ci_u32 s13, s17, s19
	s_xor_b64 s[16:17], s[24:25], 0
	s_mov_b32 s19, s23
	s_mul_hi_u32 s25, s16, s13
	s_mul_i32 s24, s16, s13
	s_mul_hi_u32 s26, s16, s3
	s_mul_hi_u32 s18, s17, s3
	s_mul_i32 s3, s17, s3
	s_add_nc_u64 s[24:25], s[26:27], s[24:25]
	s_mul_hi_u32 s29, s17, s13
	s_add_co_u32 s3, s24, s3
	s_add_co_ci_u32 s18, s25, s18
	s_mul_i32 s26, s17, s13
	s_add_co_ci_u32 s27, s29, 0
	s_delay_alu instid0(SALU_CYCLE_1) | instskip(NEXT) | instid1(SALU_CYCLE_1)
	s_add_nc_u64 s[18:19], s[18:19], s[26:27]
	s_and_b64 s[24:25], s[18:19], 0xffffffff00000000
	s_delay_alu instid0(SALU_CYCLE_1) | instskip(NEXT) | instid1(SALU_CYCLE_1)
	s_or_b32 s24, s24, s18
	s_mul_u64 s[18:19], s[14:15], s[24:25]
	s_delay_alu instid0(SALU_CYCLE_1)
	s_sub_co_u32 s3, s16, s18
	s_cselect_b32 s13, -1, 0
	s_sub_co_i32 s16, s17, s19
	s_cmp_lg_u32 s13, 0
	s_sub_co_ci_u32 s16, s16, s15
	s_sub_co_u32 s18, s3, s14
	s_cselect_b32 s24, -1, 0
	s_delay_alu instid0(SALU_CYCLE_1) | instskip(SKIP_1) | instid1(SALU_CYCLE_1)
	s_cmp_lg_u32 s24, 0
	s_sub_co_ci_u32 s25, s16, 0
	s_cmp_ge_u32 s25, s15
	s_cselect_b32 s26, -1, 0
	s_cmp_ge_u32 s18, s14
	s_cselect_b32 s27, -1, 0
	s_cmp_eq_u32 s25, s15
	s_cselect_b32 s26, s27, s26
	s_cmp_lg_u32 s24, 0
	s_sub_co_ci_u32 s16, s16, s15
	s_sub_co_u32 s24, s18, s14
	s_cselect_b32 s27, -1, 0
	s_delay_alu instid0(SALU_CYCLE_1)
	s_cmp_lg_u32 s27, 0
	s_sub_co_ci_u32 s16, s16, 0
	s_cmp_lg_u32 s26, 0
	s_cselect_b32 s18, s24, s18
	s_cselect_b32 s16, s16, s25
	s_cmp_lg_u32 s13, 0
	s_sub_co_ci_u32 s13, s17, s19
	s_delay_alu instid0(SALU_CYCLE_1)
	s_cmp_ge_u32 s13, s15
	s_cselect_b32 s17, -1, 0
	s_cmp_ge_u32 s3, s14
	s_cselect_b32 s14, -1, 0
	s_cmp_eq_u32 s13, s15
	s_cselect_b32 s14, s14, s17
	s_delay_alu instid0(SALU_CYCLE_1) | instskip(SKIP_2) | instid1(SALU_CYCLE_1)
	s_cmp_lg_u32 s14, 0
	s_cselect_b32 s15, s16, s13
	s_cselect_b32 s14, s18, s3
	s_xor_b64 s[14:15], s[14:15], 0
	s_delay_alu instid0(SALU_CYCLE_1)
	s_sub_nc_u64 s[24:25], s[14:15], 0
	s_and_not1_b32 vcc_lo, exec_lo, s23
	s_cbranch_vccnz .LBB19_6
.LBB19_5:
	v_cvt_f32_u32_e32 v1, s12
	s_sub_co_i32 s13, 0, s12
	s_mov_b32 s25, 0
	s_delay_alu instid0(VALU_DEP_1) | instskip(SKIP_1) | instid1(TRANS32_DEP_1)
	v_rcp_iflag_f32_e32 v1, v1
	v_nop
	v_mul_f32_e32 v1, 0x4f7ffffe, v1
	s_delay_alu instid0(VALU_DEP_1) | instskip(NEXT) | instid1(VALU_DEP_1)
	v_cvt_u32_f32_e32 v1, v1
	v_readfirstlane_b32 s3, v1
	s_mul_i32 s13, s13, s3
	s_delay_alu instid0(SALU_CYCLE_1) | instskip(NEXT) | instid1(SALU_CYCLE_1)
	s_mul_hi_u32 s13, s3, s13
	s_add_co_i32 s3, s3, s13
	s_delay_alu instid0(SALU_CYCLE_1) | instskip(NEXT) | instid1(SALU_CYCLE_1)
	s_mul_hi_u32 s3, s22, s3
	s_mul_i32 s3, s3, s12
	s_delay_alu instid0(SALU_CYCLE_1) | instskip(NEXT) | instid1(SALU_CYCLE_1)
	s_sub_co_i32 s3, s22, s3
	s_sub_co_i32 s13, s3, s12
	s_cmp_ge_u32 s3, s12
	s_cselect_b32 s3, s13, s3
	s_delay_alu instid0(SALU_CYCLE_1)
	s_sub_co_i32 s13, s3, s12
	s_cmp_ge_u32 s3, s12
	s_cselect_b32 s24, s13, s3
.LBB19_6:
	s_load_b64 s[26:27], s[0:1], 0xa0
	v_mov_b32_e32 v1, 1.0
	s_wait_kmcnt 0x0
	s_cmp_le_f32 s11, 0
	s_cbranch_scc1 .LBB19_8
; %bb.7:
	s_clause 0x1
	s_load_b32 s3, s[0:1], 0x28
	s_load_b64 s[12:13], s[0:1], 0x98
	s_add_co_i32 s14, s2, 1
	s_wait_kmcnt 0x0
	s_sub_co_i32 s11, s2, s3
	s_delay_alu instid0(SALU_CYCLE_1) | instskip(NEXT) | instid1(SALU_CYCLE_1)
	s_lshl_b32 s11, s11, 1
	s_or_b32 s11, s11, 1
	s_cmp_lt_u32 s2, s3
	s_cselect_b32 s3, s14, s11
	s_cselect_b32 s12, s12, s13
	s_cvt_f32_i32 s3, s3
	s_cmp_neq_f32 s12, 1.0
	s_delay_alu instid0(SALU_CYCLE_2) | instskip(NEXT) | instid1(SALU_CYCLE_1)
	s_cselect_b32 s11, s3, 1.0
	s_cmp_neq_f32 s11, 0
	s_cselect_b32 s3, s12, 1.0
	s_delay_alu instid0(SALU_CYCLE_1) | instskip(NEXT) | instid1(VALU_DEP_1)
	v_cvt_f64_f32_e64 v[2:3], |s3|
	v_frexp_exp_i32_f64_e32 v1, v[2:3]
	v_frexp_mant_f32_e64 v2, |s3|
	s_delay_alu instid0(VALU_DEP_1) | instskip(SKIP_2) | instid1(SALU_CYCLE_1)
	v_readfirstlane_b32 s12, v2
	s_cmp_lt_f32 s12, 0x3f2aaaab
	s_cselect_b32 vcc_lo, -1, 0
	s_and_b32 s13, vcc_lo, exec_lo
	s_cselect_b32 s13, 2.0, 1.0
	s_delay_alu instid0(SALU_CYCLE_1) | instskip(NEXT) | instid1(SALU_CYCLE_3)
	s_mul_f32 s12, s12, s13
	s_add_f32 s13, s12, 1.0
	s_add_f32 s15, s12, -1.0
	s_delay_alu instid0(SALU_CYCLE_2) | instskip(SKIP_2) | instid1(SALU_CYCLE_2)
	v_s_rcp_f32 s14, s13
	s_add_f32 s18, s13, -1.0
	v_subrev_co_ci_u32_e64 v1, null, 0, v1, vcc_lo
	s_sub_f32 s12, s12, s18
	s_delay_alu instid0(TRANS32_DEP_1) | instskip(SKIP_1) | instid1(SALU_CYCLE_2)
	s_mul_f32 s16, s15, s14
	v_cvt_f32_i32_e32 v1, v1
	s_mul_f32 s17, s13, s16
	s_delay_alu instid0(SALU_CYCLE_3) | instskip(SKIP_1) | instid1(SALU_CYCLE_1)
	v_dual_mov_b32 v3, s15 :: v_dual_mov_b32 v4, s17
	s_xor_b32 s19, s17, 0x80000000
	s_fmac_f32 s19, s16, s13
	s_delay_alu instid0(SALU_CYCLE_3) | instskip(NEXT) | instid1(SALU_CYCLE_3)
	s_fmac_f32 s19, s16, s12
	s_add_f32 s12, s17, s19
	v_mov_b32_e32 v6, s19
	s_mov_b32 s17, 0x3e76c4e1
	s_delay_alu instid0(SALU_CYCLE_1) | instskip(SKIP_1) | instid1(SALU_CYCLE_2)
	s_sub_f32 s13, s15, s12
	v_dual_mov_b32 v2, s12 :: v_dual_mov_b32 v7, s12
	v_mov_b32_e32 v5, s13
	s_delay_alu instid0(VALU_DEP_1) | instskip(NEXT) | instid1(VALU_DEP_1)
	v_pk_add_f32 v[2:3], v[2:3], v[4:5] neg_lo:[0,1] neg_hi:[0,1]
	v_pk_add_f32 v[2:3], v[2:3], v[6:7] neg_lo:[0,1] neg_hi:[0,1]
	s_delay_alu instid0(VALU_DEP_1) | instskip(NEXT) | instid1(VALU_DEP_2)
	v_readfirstlane_b32 s12, v3
	v_readfirstlane_b32 s15, v2
	s_add_f32 s12, s15, s12
	s_delay_alu instid0(SALU_CYCLE_3) | instskip(NEXT) | instid1(SALU_CYCLE_3)
	s_add_f32 s12, s13, s12
	s_mul_f32 s13, s14, s12
	s_delay_alu instid0(SALU_CYCLE_3) | instskip(NEXT) | instid1(SALU_CYCLE_3)
	s_add_f32 s12, s16, s13
	s_sub_f32 s14, s12, s16
	s_mul_f32 s15, s12, s12
	s_delay_alu instid0(SALU_CYCLE_2) | instskip(NEXT) | instid1(SALU_CYCLE_2)
	s_sub_f32 s16, s13, s14
	s_xor_b32 s13, s15, 0x80000000
	s_delay_alu instid0(SALU_CYCLE_1) | instskip(NEXT) | instid1(SALU_CYCLE_1)
	s_fmac_f32 s13, s12, s12
	s_add_f32 s14, s16, s16
	s_delay_alu instid0(SALU_CYCLE_3) | instskip(NEXT) | instid1(SALU_CYCLE_3)
	s_fmac_f32 s13, s12, s14
	s_add_f32 s14, s15, s13
	s_delay_alu instid0(SALU_CYCLE_3) | instskip(SKIP_1) | instid1(SALU_CYCLE_2)
	s_fmaak_f32 s17, s14, s17, 0x3e91f4c4
	s_sub_f32 s15, s14, s15
	s_fmaak_f32 s17, s14, s17, 0x3ecccdef
	s_delay_alu instid0(SALU_CYCLE_2) | instskip(NEXT) | instid1(SALU_CYCLE_2)
	s_sub_f32 s23, s13, s15
	s_mul_f32 s18, s14, s17
	s_delay_alu instid0(SALU_CYCLE_3) | instskip(NEXT) | instid1(SALU_CYCLE_1)
	s_xor_b32 s19, s18, 0x80000000
	s_fmac_f32 s19, s14, s17
	s_delay_alu instid0(SALU_CYCLE_3) | instskip(NEXT) | instid1(SALU_CYCLE_3)
	s_fmac_f32 s19, s23, s17
	s_add_f32 s15, s18, s19
	s_delay_alu instid0(SALU_CYCLE_3) | instskip(SKIP_1) | instid1(SALU_CYCLE_2)
	s_sub_f32 s13, s15, s18
	s_add_f32 s17, s15, 0x3f2aaaaa
	s_sub_f32 s13, s19, s13
	s_delay_alu instid0(SALU_CYCLE_2) | instskip(NEXT) | instid1(SALU_CYCLE_2)
	s_add_f32 s18, s17, 0xbf2aaaaa
	s_add_f32 s13, s13, 0x31739010
	s_delay_alu instid0(SALU_CYCLE_2) | instskip(NEXT) | instid1(SALU_CYCLE_2)
	s_sub_f32 s15, s15, s18
	v_mov_b64_e32 v[2:3], s[12:13]
	s_delay_alu instid0(SALU_CYCLE_2) | instskip(NEXT) | instid1(VALU_DEP_1)
	v_mov_b64_e32 v[4:5], s[14:15]
	v_pk_mul_f32 v[6:7], v[2:3], v[4:5]
	v_pk_add_f32 v[2:3], v[2:3], v[4:5]
	v_mov_b32_e32 v9, s17
	s_delay_alu instid0(VALU_DEP_3) | instskip(NEXT) | instid1(VALU_DEP_3)
	v_xor_b32_e32 v8, 0x80000000, v6
	v_mov_b32_e32 v7, v3
	s_delay_alu instid0(VALU_DEP_2) | instskip(NEXT) | instid1(VALU_DEP_1)
	v_fmac_f32_e64 v8, s14, s12
	v_fmac_f32_e64 v8, s14, s16
	s_delay_alu instid0(VALU_DEP_1) | instskip(NEXT) | instid1(VALU_DEP_1)
	v_fmac_f32_e64 v8, s23, s12
	v_pk_add_f32 v[4:5], v[6:7], v[8:9]
	s_delay_alu instid0(VALU_DEP_1) | instskip(SKIP_1) | instid1(VALU_DEP_2)
	v_dual_mov_b32 v2, v5 :: v_dual_sub_f32 v7, s17, v5
	v_mul_f32_e32 v12, 0x3f317218, v1
	v_pk_mul_f32 v[10:11], v[4:5], v[2:3]
	s_delay_alu instid0(VALU_DEP_3) | instskip(NEXT) | instid1(VALU_DEP_3)
	v_add_f32_e32 v3, v3, v7
	v_xor_b32_e32 v7, 0x80000000, v12
	s_delay_alu instid0(VALU_DEP_3) | instskip(NEXT) | instid1(VALU_DEP_2)
	v_xor_b32_e32 v2, 0x80000000, v10
	v_dual_sub_f32 v6, v4, v6 :: v_dual_fmac_f32 v7, 0x3f317218, v1
	s_delay_alu instid0(VALU_DEP_2) | instskip(NEXT) | instid1(VALU_DEP_2)
	v_fmac_f32_e32 v2, v4, v5
	v_sub_f32_e32 v6, v8, v6
	s_delay_alu instid0(VALU_DEP_2) | instskip(NEXT) | instid1(VALU_DEP_1)
	v_fmac_f32_e32 v2, v4, v3
	v_fmac_f32_e32 v2, v6, v5
	v_fmamk_f32 v4, v1, 0xb102e308, v7
	v_ldexp_f32 v5, s12, 1
	v_ldexp_f32 v1, s16, 1
	s_delay_alu instid0(VALU_DEP_2) | instskip(NEXT) | instid1(VALU_DEP_1)
	v_dual_add_f32 v13, v10, v2 :: v_dual_mov_b32 v11, v5
	v_pk_add_f32 v[6:7], v[12:13], v[4:5]
	v_dual_mov_b32 v8, v13 :: v_dual_mov_b32 v3, v13
	s_delay_alu instid0(VALU_DEP_2) | instskip(SKIP_1) | instid1(VALU_DEP_2)
	v_dual_mov_b32 v9, v7 :: v_dual_mov_b32 v5, v6
	v_mov_b32_e32 v14, v7
	v_pk_add_f32 v[8:9], v[8:9], v[10:11] neg_lo:[0,1] neg_hi:[0,1]
	s_delay_alu instid0(VALU_DEP_1) | instskip(NEXT) | instid1(VALU_DEP_1)
	v_pk_add_f32 v[2:3], v[2:3], v[8:9] neg_lo:[0,1] neg_hi:[0,1]
	v_add_f32_e32 v1, v1, v2
	s_delay_alu instid0(VALU_DEP_1) | instskip(NEXT) | instid1(VALU_DEP_1)
	v_add_f32_e32 v13, v1, v3
	v_pk_add_f32 v[2:3], v[6:7], v[12:13]
	v_pk_add_f32 v[8:9], v[6:7], v[12:13] neg_lo:[0,1] neg_hi:[0,1]
	s_delay_alu instid0(VALU_DEP_2) | instskip(NEXT) | instid1(VALU_DEP_1)
	v_mov_b32_e32 v9, v3
	v_pk_add_f32 v[10:11], v[4:5], v[8:9]
	v_pk_add_f32 v[4:5], v[4:5], v[8:9] neg_lo:[0,1] neg_hi:[0,1]
	v_dual_mov_b32 v16, v3 :: v_dual_mov_b32 v5, v6
	s_delay_alu instid0(VALU_DEP_3) | instskip(NEXT) | instid1(VALU_DEP_3)
	v_dual_mov_b32 v12, v11 :: v_dual_mov_b32 v17, v11
	v_readfirstlane_b32 s12, v4
	s_delay_alu instid0(VALU_DEP_2) | instskip(NEXT) | instid1(VALU_DEP_2)
	v_pk_add_f32 v[8:9], v[12:13], v[6:7] neg_lo:[0,1] neg_hi:[0,1]
	v_dual_mov_b32 v4, v13 :: v_dual_mov_b32 v10, s12
	s_delay_alu instid0(VALU_DEP_2) | instskip(NEXT) | instid1(VALU_DEP_1)
	v_dual_mov_b32 v15, v8 :: v_dual_mov_b32 v1, v8
	v_pk_add_f32 v[6:7], v[16:17], v[14:15] neg_lo:[0,1] neg_hi:[0,1]
	s_delay_alu instid0(VALU_DEP_2) | instskip(SKIP_1) | instid1(VALU_DEP_3)
	v_pk_add_f32 v[2:3], v[2:3], v[0:1] neg_lo:[0,1] neg_hi:[0,1]
	v_mov_b32_e32 v2, s12
	v_pk_add_f32 v[4:5], v[4:5], v[6:7] neg_lo:[0,1] neg_hi:[0,1]
	s_delay_alu instid0(VALU_DEP_1) | instskip(NEXT) | instid1(VALU_DEP_1)
	v_pk_add_f32 v[2:3], v[2:3], v[4:5]
	v_readfirstlane_b32 s13, v2
	s_delay_alu instid0(VALU_DEP_2) | instskip(NEXT) | instid1(VALU_DEP_1)
	v_mov_b32_e32 v6, v3
	v_pk_add_f32 v[6:7], v[2:3], v[6:7]
	s_delay_alu instid0(VALU_DEP_3) | instskip(NEXT) | instid1(VALU_DEP_2)
	v_mov_b32_e32 v2, s13
	v_pk_add_f32 v[8:9], v[12:13], v[6:7]
	v_mov_b32_e32 v5, v6
	s_delay_alu instid0(VALU_DEP_2) | instskip(NEXT) | instid1(VALU_DEP_1)
	v_readfirstlane_b32 s14, v8
	v_mov_b32_e32 v3, s14
	s_delay_alu instid0(VALU_DEP_1) | instskip(NEXT) | instid1(VALU_DEP_1)
	v_pk_add_f32 v[2:3], v[2:3], v[10:11] neg_lo:[0,1] neg_hi:[0,1]
	v_readfirstlane_b32 s15, v2
	s_delay_alu instid0(VALU_DEP_2) | instskip(SKIP_1) | instid1(VALU_DEP_1)
	v_pk_add_f32 v[2:3], v[4:5], v[2:3] neg_lo:[0,1] neg_hi:[0,1]
	s_sub_f32 s13, s13, s15
	v_readfirstlane_b32 s15, v2
	s_delay_alu instid0(SALU_CYCLE_2) | instskip(SKIP_1) | instid1(SALU_CYCLE_2)
	s_sub_f32 s12, s12, s13
	v_readfirstlane_b32 s13, v3
	s_add_f32 s12, s15, s12
	s_delay_alu instid0(SALU_CYCLE_3) | instskip(NEXT) | instid1(SALU_CYCLE_3)
	s_add_f32 s12, s12, s13
	s_add_f32 s13, s14, s12
	s_delay_alu instid0(SALU_CYCLE_3) | instskip(SKIP_1) | instid1(SALU_CYCLE_2)
	s_mul_f32 s15, s11, s13
	s_sub_f32 s14, s13, s14
	s_xor_b32 s16, s15, 0x80000000
	s_delay_alu instid0(SALU_CYCLE_2) | instskip(SKIP_1) | instid1(SALU_CYCLE_3)
	s_sub_f32 s12, s12, s14
	s_fmac_f32 s16, s11, s13
	s_fmac_f32 s16, s11, s12
	v_cmp_class_f32_e64 s12, s15, 0x204
	s_delay_alu instid0(SALU_CYCLE_2) | instskip(SKIP_1) | instid1(SALU_CYCLE_2)
	s_add_f32 s13, s15, s16
	s_and_b32 s12, s12, exec_lo
	s_sub_f32 s12, s13, s15
	s_cselect_b32 s13, s15, s13
	s_delay_alu instid0(SALU_CYCLE_1) | instskip(NEXT) | instid1(SALU_CYCLE_1)
	s_and_b32 s14, s13, 0x7fffffff
	s_sub_f32 s12, s16, s12
	s_cmp_neq_f32 s14, 0x7f800000
	s_delay_alu instid0(SALU_CYCLE_2) | instskip(SKIP_2) | instid1(SALU_CYCLE_1)
	s_cselect_b32 s12, s12, 0
	s_cmp_eq_f32 s13, 0x42b17218
	s_cselect_b32 s14, 0x37000000, 0
	s_sub_f32 s13, s13, s14
	s_add_f32 s12, s14, s12
	s_delay_alu instid0(SALU_CYCLE_2) | instskip(NEXT) | instid1(SALU_CYCLE_3)
	s_mul_f32 s15, s13, 0x3fb8aa3b
	s_xor_b32 s16, s15, 0x80000000
	s_rndne_f32 s17, s15
	s_fmamk_f32 s16, s13, 0x3fb8aa3b, s16
	s_cmp_nlt_f32 s13, 0xc2ce8ed0
	s_delay_alu instid0(SALU_CYCLE_1) | instskip(NEXT) | instid1(SALU_CYCLE_1)
	s_sub_f32 s15, s15, s17
	s_fmamk_f32 s16, s13, 0x32a5705f, s16
	s_cselect_b32 vcc_lo, -1, 0
	s_cmp_ngt_f32 s13, 0x42b17218
	s_trunc_f32 s13, s11
	s_add_f32 s15, s15, s16
	s_cvt_i32_f32 s16, s17
	s_delay_alu instid0(SALU_CYCLE_2)
	v_s_exp_f32 s15, s15
	v_nop
	s_delay_alu instid0(TRANS32_DEP_1) | instid1(SALU_CYCLE_1)
	v_ldexp_f32 v1, s15, s16
	s_mul_f32 s15, s11, 0.5
	s_delay_alu instid0(VALU_DEP_1) | instskip(SKIP_3) | instid1(VALU_DEP_1)
	v_cndmask_b32_e32 v1, 0, v1, vcc_lo
	s_cselect_b32 vcc_lo, -1, 0
	s_cmp_eq_f32 s13, s11
	s_trunc_f32 s16, s15
	v_cndmask_b32_e32 v1, 0x7f800000, v1, vcc_lo
	s_cselect_b32 s17, -1, 0
	s_delay_alu instid0(SALU_CYCLE_1) | instskip(NEXT) | instid1(VALU_DEP_1)
	s_cmp_neq_f32 s16, s15
	v_fma_f32 v2, s12, v1, v1
	v_cmp_class_f32_e64 vcc_lo, v1, 0x204
	s_cselect_b32 s14, -1, 0
	s_delay_alu instid0(SALU_CYCLE_1)
	s_and_b32 s12, s17, s14
	v_cndmask_b32_e32 v1, v2, v1, vcc_lo
	s_and_b32 s14, s12, exec_lo
	s_cselect_b32 s14, s3, 1.0
	s_cmp_eq_f32 s13, s11
	v_cmp_class_f32_e64 s13, s3, 0x204
	v_bfi_b32 v1, 0x7fffffff, v1, s14
	s_cselect_b32 vcc_lo, -1, 0
	s_cmp_lt_f32 s3, 0
	s_delay_alu instid0(VALU_DEP_1) | instskip(SKIP_2) | instid1(VALU_DEP_1)
	v_cndmask_b32_e32 v2, 0x7fc00000, v1, vcc_lo
	s_cselect_b32 vcc_lo, -1, 0
	s_cmp_eq_f32 s3, 0
	v_cndmask_b32_e32 v1, v1, v2, vcc_lo
	s_cselect_b32 s14, -1, 0
	s_delay_alu instid0(SALU_CYCLE_1) | instskip(SKIP_2) | instid1(SALU_CYCLE_1)
	s_or_b32 vcc_lo, s14, s13
	s_cmp_lt_f32 s11, 0
	s_cselect_b32 s11, -1, 0
	s_xor_b32 s11, s11, s14
	s_delay_alu instid0(SALU_CYCLE_1)
	s_and_b32 s11, s11, exec_lo
	s_cselect_b32 s11, 0, 0x7f800000
	s_and_b32 s12, s12, exec_lo
	s_cselect_b32 s12, s3, 0
	s_cmp_o_f32 s3, s3
	v_mov_b32_e32 v2, s12
	s_delay_alu instid0(VALU_DEP_1) | instskip(NEXT) | instid1(VALU_DEP_1)
	v_bfi_b32 v2, 0x7fffffff, s11, v2
	v_cndmask_b32_e32 v1, v1, v2, vcc_lo
	s_cselect_b32 vcc_lo, -1, 0
	s_delay_alu instid0(VALU_DEP_1)
	v_cndmask_b32_e32 v1, 0x7fc00000, v1, vcc_lo
.LBB19_8:
	s_load_b256 s[12:19], s[0:1], 0x0
	s_wait_kmcnt 0x0
	s_cmp_lg_u64 s[16:17], 0
	s_cselect_b32 s3, -1, 0
	s_cmp_eq_u64 s[16:17], 0
	s_cbranch_scc1 .LBB19_12
; %bb.9:
	s_load_b32 s11, s[16:17], s2 offset:0x0 scale_offset
	s_branch .LBB19_13
.LBB19_10:
                                        ; implicit-def: $sgpr20_sgpr21
	s_branch .LBB19_2
.LBB19_11:
                                        ; implicit-def: $sgpr24_sgpr25
	s_branch .LBB19_5
.LBB19_12:
	s_mov_b32 s11, 0xff800000
.LBB19_13:
	s_bfe_u32 s0, ttmp6, 0x4000c
	s_and_b32 s1, ttmp6, 15
	s_add_co_i32 s0, s0, 1
	s_mul_i32 s22, s27, s22
	s_mul_i32 s0, ttmp9, s0
	v_mov_b32_e32 v8, 0
	s_add_co_i32 s1, s1, s0
	s_cmp_eq_u32 s28, 0
	s_cselect_b32 s0, ttmp9, s1
	s_add_co_i32 s1, s22, s2
	s_delay_alu instid0(SALU_CYCLE_1) | instskip(NEXT) | instid1(SALU_CYCLE_1)
	s_mul_i32 s1, s1, s26
	s_add_co_i32 s22, s1, s0
	s_mov_b32 s1, 0
	s_ashr_i32 s23, s22, 31
	s_delay_alu instid0(SALU_CYCLE_1)
	s_lshl_b64 s[26:27], s[22:23], 9
	s_cmp_eq_u64 s[14:15], 0
	s_add_nc_u64 s[12:13], s[12:13], s[26:27]
	global_load_b32 v2, v0, s[12:13] scale_offset
	s_wait_xcnt 0x0
	s_cselect_b32 s12, -1, 0
	s_cmp_lg_u64 s[14:15], 0
	s_cbranch_scc0 .LBB19_15
; %bb.14:
	s_mul_u64 s[0:1], s[4:5], s[0:1]
	s_mul_u64 s[4:5], s[20:21], s[6:7]
	;; [unrolled: 1-line block ×3, first 2 shown]
	s_add_nc_u64 s[0:1], s[4:5], s[0:1]
	s_delay_alu instid0(SALU_CYCLE_1) | instskip(NEXT) | instid1(SALU_CYCLE_1)
	s_add_nc_u64 s[0:1], s[0:1], s[6:7]
	s_lshr_b64 s[0:1], s[0:1], 2
	s_and_b32 s4, s12, exec_lo
	s_cselect_b32 s1, 0, s1
	s_cselect_b32 s0, 0, s0
	s_delay_alu instid0(SALU_CYCLE_1) | instskip(NEXT) | instid1(SALU_CYCLE_1)
	s_lshl_b64 s[0:1], s[0:1], 2
	s_add_nc_u64 s[0:1], s[14:15], s[0:1]
	global_load_b32 v3, v0, s[0:1] scale_offset
	s_wait_loadcnt 0x0
	v_mul_f32_e32 v8, v1, v3
.LBB19_15:
	v_mbcnt_lo_u32_b32 v1, -1, 0
	s_wait_loadcnt 0x0
	s_delay_alu instid0(VALU_DEP_2) | instskip(SKIP_3) | instid1(VALU_DEP_2)
	v_fmac_f32_e32 v8, s10, v2
	s_wait_kmcnt 0x0
	v_max_num_f32_e64 v2, s11, s11
	v_xor_b32_e32 v3, 16, v1
	v_dual_max_num_f32 v4, v2, v8 :: v_dual_bitop2_b32 v5, 8, v1 bitop3:0x14
	s_delay_alu instid0(VALU_DEP_2) | instskip(SKIP_1) | instid1(VALU_DEP_3)
	v_cmp_gt_i32_e32 vcc_lo, 32, v3
	v_cndmask_b32_e32 v3, v1, v3, vcc_lo
	v_cmp_gt_i32_e32 vcc_lo, 32, v5
	s_delay_alu instid0(VALU_DEP_2) | instskip(SKIP_3) | instid1(VALU_DEP_1)
	v_lshlrev_b32_e32 v2, 2, v3
	ds_bpermute_b32 v3, v2, v4
	s_wait_dscnt 0x0
	v_dual_cndmask_b32 v5, v1, v5 :: v_dual_max_num_f32 v6, v3, v3
	v_dual_lshlrev_b32 v3, 2, v5 :: v_dual_max_num_f32 v5, v4, v6
	ds_bpermute_b32 v4, v3, v5
	s_wait_dscnt 0x0
	v_dual_max_num_f32 v7, v4, v4 :: v_dual_bitop2_b32 v6, 4, v1 bitop3:0x14
	s_delay_alu instid0(VALU_DEP_1) | instskip(SKIP_1) | instid1(VALU_DEP_1)
	v_cmp_gt_i32_e32 vcc_lo, 32, v6
	v_cndmask_b32_e32 v6, v1, v6, vcc_lo
	v_dual_lshlrev_b32 v4, 2, v6 :: v_dual_max_num_f32 v6, v5, v7
	v_xor_b32_e32 v7, 2, v1
	ds_bpermute_b32 v5, v4, v6
	v_cmp_gt_i32_e32 vcc_lo, 32, v7
	s_wait_dscnt 0x0
	v_max_num_f32_e32 v9, v5, v5
	s_delay_alu instid0(VALU_DEP_1) | instskip(NEXT) | instid1(VALU_DEP_1)
	v_dual_cndmask_b32 v7, v1, v7 :: v_dual_max_num_f32 v6, v6, v9
	v_lshlrev_b32_e32 v5, 2, v7
	ds_bpermute_b32 v7, v5, v6
	s_wait_dscnt 0x0
	v_dual_max_num_f32 v7, v7, v7 :: v_dual_bitop2_b32 v9, 1, v1 bitop3:0x14
	s_delay_alu instid0(VALU_DEP_1) | instskip(NEXT) | instid1(VALU_DEP_2)
	v_cmp_gt_i32_e32 vcc_lo, 32, v9
	v_dual_max_num_f32 v10, v6, v7 :: v_dual_cndmask_b32 v1, v1, v9
	v_dual_lshrrev_b32 v7, 3, v0 :: v_dual_bitop2_b32 v9, 31, v0 bitop3:0x40
	s_delay_alu instid0(VALU_DEP_2) | instskip(SKIP_1) | instid1(VALU_DEP_3)
	v_lshlrev_b32_e32 v6, 2, v1
	v_lshl_add_u32 v1, v0, 2, 0
	v_cmp_eq_u32_e32 vcc_lo, 0, v9
	ds_bpermute_b32 v11, v6, v10
	ds_store_b32 v1, v8 offset:128
	s_and_saveexec_b32 s0, vcc_lo
	s_delay_alu instid0(SALU_CYCLE_1)
	s_xor_b32 s0, exec_lo, s0
	s_cbranch_execz .LBB19_17
; %bb.16:
	s_wait_dscnt 0x1
	v_dual_max_num_f32 v8, v11, v11 :: v_dual_max_num_f32 v10, v10, v10
	s_delay_alu instid0(VALU_DEP_1)
	v_dual_max_num_f32 v8, v10, v8 :: v_dual_add_nc_u32 v10, 0, v7
	ds_store_b32 v10, v8
.LBB19_17:
	s_or_b32 exec_lo, exec_lo, s0
	v_cmp_gt_u32_e64 s0, 4, v9
	v_mov_b32_e32 v10, 0xff800000
	v_lshl_add_u32 v8, v9, 2, 0
	s_wait_dscnt 0x0
	s_barrier_signal -1
	s_barrier_wait -1
	s_and_saveexec_b32 s1, s0
; %bb.18:
	ds_load_b32 v10, v8
; %bb.19:
	s_or_b32 exec_lo, exec_lo, s1
	s_wait_dscnt 0x0
	ds_bpermute_b32 v9, v2, v10
	v_max_num_f32_e32 v10, v10, v10
	ds_load_b32 v11, v1 offset:128
	s_wait_dscnt 0x1
	v_max_num_f32_e32 v9, v9, v9
	s_delay_alu instid0(VALU_DEP_1) | instskip(SKIP_3) | instid1(VALU_DEP_1)
	v_max_num_f32_e32 v9, v10, v9
	ds_bpermute_b32 v10, v3, v9
	s_wait_dscnt 0x0
	v_max_num_f32_e32 v10, v10, v10
	v_max_num_f32_e32 v9, v9, v10
	ds_bpermute_b32 v10, v4, v9
	s_wait_dscnt 0x0
	v_max_num_f32_e32 v10, v10, v10
	s_delay_alu instid0(VALU_DEP_1) | instskip(SKIP_3) | instid1(VALU_DEP_1)
	v_max_num_f32_e32 v9, v9, v10
	ds_bpermute_b32 v10, v5, v9
	s_wait_dscnt 0x0
	v_max_num_f32_e32 v10, v10, v10
	v_max_num_f32_e32 v9, v9, v10
	ds_bpermute_b32 v10, v6, v9
	s_wait_dscnt 0x0
	v_max_num_f32_e32 v10, v10, v10
	s_delay_alu instid0(VALU_DEP_1) | instskip(NEXT) | instid1(VALU_DEP_1)
	v_max_num_f32_e32 v9, v9, v10
	v_sub_f32_e32 v10, v11, v9
	s_delay_alu instid0(VALU_DEP_1) | instskip(NEXT) | instid1(VALU_DEP_1)
	v_mul_f32_e32 v11, 0x3fb8aa3b, v10
	v_fma_f32 v12, 0x3fb8aa3b, v10, -v11
	v_rndne_f32_e32 v13, v11
	s_delay_alu instid0(VALU_DEP_1) | instskip(NEXT) | instid1(VALU_DEP_1)
	v_dual_fmamk_f32 v12, v10, 0x32a5705f, v12 :: v_dual_sub_f32 v11, v11, v13
	v_add_f32_e32 v11, v11, v12
	v_cvt_i32_f32_e32 v12, v13
	v_cmp_ngt_f32_e64 s1, 0xc2ce8ed0, v10
	s_delay_alu instid0(VALU_DEP_3) | instskip(SKIP_1) | instid1(TRANS32_DEP_1)
	v_exp_f32_e32 v11, v11
	v_nop
	v_ldexp_f32 v11, v11, v12
	s_delay_alu instid0(VALU_DEP_1) | instskip(SKIP_1) | instid1(VALU_DEP_1)
	v_cndmask_b32_e64 v11, 0, v11, s1
	v_cmp_nlt_f32_e64 s1, 0x42b17218, v10
	v_cndmask_b32_e64 v12, 0x7f800000, v11, s1
	ds_bpermute_b32 v10, v2, v12
	ds_store_b32 v1, v12 offset:128
	s_wait_dscnt 0x1
	v_add_f32_e32 v10, v12, v10
	ds_bpermute_b32 v11, v3, v10
	s_wait_dscnt 0x0
	v_add_f32_e32 v10, v10, v11
	ds_bpermute_b32 v11, v4, v10
	;; [unrolled: 3-line block ×4, first 2 shown]
	s_and_saveexec_b32 s1, vcc_lo
	s_cbranch_execz .LBB19_21
; %bb.20:
	s_wait_dscnt 0x0
	v_add_f32_e32 v10, v10, v11
	v_add_nc_u32_e32 v7, 0, v7
	ds_store_b32 v7, v10
.LBB19_21:
	s_or_b32 exec_lo, exec_lo, s1
	v_mov_b32_e32 v7, 0
	s_wait_dscnt 0x0
	s_barrier_signal -1
	s_barrier_wait -1
	s_and_saveexec_b32 s1, s0
; %bb.22:
	ds_load_b32 v7, v8
; %bb.23:
	s_or_b32 exec_lo, exec_lo, s1
	s_wait_dscnt 0x0
	ds_bpermute_b32 v2, v2, v7
	s_and_not1_b32 vcc_lo, exec_lo, s3
	s_lshl_b64 s[0:1], s[22:23], 7
	s_wait_dscnt 0x0
	v_add_f32_e32 v2, v7, v2
	ds_bpermute_b32 v3, v3, v2
	s_wait_dscnt 0x0
	v_add_f32_e32 v2, v2, v3
	ds_bpermute_b32 v3, v4, v2
	;; [unrolled: 3-line block ×4, first 2 shown]
	s_wait_dscnt 0x0
	v_add_f32_e32 v2, v2, v3
	s_cbranch_vccnz .LBB19_25
; %bb.24:
	s_load_b32 s2, s[16:17], s2 offset:0x0 scale_offset
	s_wait_kmcnt 0x0
	v_sub_f32_e32 v3, s2, v9
	s_delay_alu instid0(VALU_DEP_1) | instskip(NEXT) | instid1(VALU_DEP_1)
	v_mul_f32_e32 v4, 0x3fb8aa3b, v3
	v_fma_f32 v5, 0x3fb8aa3b, v3, -v4
	v_rndne_f32_e32 v6, v4
	s_delay_alu instid0(VALU_DEP_1) | instskip(SKIP_1) | instid1(VALU_DEP_4)
	v_sub_f32_e32 v4, v4, v6
	v_cmp_ngt_f32_e32 vcc_lo, 0xc2ce8ed0, v3
	v_fmamk_f32 v5, v3, 0x32a5705f, v5
	s_delay_alu instid0(VALU_DEP_1) | instskip(SKIP_1) | instid1(VALU_DEP_2)
	v_add_f32_e32 v4, v4, v5
	v_cvt_i32_f32_e32 v5, v6
	v_exp_f32_e32 v4, v4
	v_nop
	s_delay_alu instid0(TRANS32_DEP_1) | instskip(NEXT) | instid1(VALU_DEP_1)
	v_ldexp_f32 v4, v4, v5
	v_cndmask_b32_e32 v4, 0, v4, vcc_lo
	v_cmp_nlt_f32_e32 vcc_lo, 0x42b17218, v3
	s_delay_alu instid0(VALU_DEP_2) | instskip(NEXT) | instid1(VALU_DEP_1)
	v_cndmask_b32_e32 v3, 0x7f800000, v4, vcc_lo
	v_add_f32_e32 v2, v2, v3
.LBB19_25:
	s_delay_alu instid0(VALU_DEP_1) | instskip(SKIP_4) | instid1(SALU_CYCLE_1)
	v_div_scale_f32 v3, null, v2, v2, 1.0
	v_div_scale_f32 v6, vcc_lo, 1.0, v2, 1.0
	ds_load_b32 v1, v1 offset:128
	v_rcp_f32_e32 v4, v3
	s_lshl_b64 s[0:1], s[0:1], 2
	s_add_nc_u64 s[0:1], s[18:19], s[0:1]
	v_nop
	s_delay_alu instid0(TRANS32_DEP_1) | instskip(NEXT) | instid1(VALU_DEP_1)
	v_fma_f32 v5, -v3, v4, 1.0
	v_fmac_f32_e32 v4, v5, v4
	s_delay_alu instid0(VALU_DEP_1) | instskip(NEXT) | instid1(VALU_DEP_1)
	v_mul_f32_e32 v5, v6, v4
	v_fma_f32 v7, -v3, v5, v6
	s_delay_alu instid0(VALU_DEP_1) | instskip(NEXT) | instid1(VALU_DEP_1)
	v_fmac_f32_e32 v5, v7, v4
	v_fma_f32 v3, -v3, v5, v6
	s_delay_alu instid0(VALU_DEP_1) | instskip(NEXT) | instid1(VALU_DEP_1)
	v_div_fmas_f32 v3, v3, v4, v5
	v_div_fixup_f32 v2, v3, v2, 1.0
	s_wait_dscnt 0x0
	s_delay_alu instid0(VALU_DEP_1)
	v_mul_f32_e32 v1, v2, v1
	global_store_b32 v0, v1, s[0:1] scale_offset
	s_endpgm
	.section	.rodata,"a",@progbits
	.p2align	6, 0x0
	.amdhsa_kernel _ZL12soft_max_f32ILb1ELi128ELi128EfEvPKfPKT2_S1_Pf15soft_max_params
		.amdhsa_group_segment_fixed_size 0
		.amdhsa_private_segment_fixed_size 0
		.amdhsa_kernarg_size 416
		.amdhsa_user_sgpr_count 2
		.amdhsa_user_sgpr_dispatch_ptr 0
		.amdhsa_user_sgpr_queue_ptr 0
		.amdhsa_user_sgpr_kernarg_segment_ptr 1
		.amdhsa_user_sgpr_dispatch_id 0
		.amdhsa_user_sgpr_kernarg_preload_length 0
		.amdhsa_user_sgpr_kernarg_preload_offset 0
		.amdhsa_user_sgpr_private_segment_size 0
		.amdhsa_wavefront_size32 1
		.amdhsa_uses_dynamic_stack 0
		.amdhsa_enable_private_segment 0
		.amdhsa_system_sgpr_workgroup_id_x 1
		.amdhsa_system_sgpr_workgroup_id_y 1
		.amdhsa_system_sgpr_workgroup_id_z 1
		.amdhsa_system_sgpr_workgroup_info 0
		.amdhsa_system_vgpr_workitem_id 0
		.amdhsa_next_free_vgpr 18
		.amdhsa_next_free_sgpr 36
		.amdhsa_named_barrier_count 0
		.amdhsa_reserve_vcc 1
		.amdhsa_float_round_mode_32 0
		.amdhsa_float_round_mode_16_64 0
		.amdhsa_float_denorm_mode_32 3
		.amdhsa_float_denorm_mode_16_64 3
		.amdhsa_fp16_overflow 0
		.amdhsa_memory_ordered 1
		.amdhsa_forward_progress 1
		.amdhsa_inst_pref_size 35
		.amdhsa_round_robin_scheduling 0
		.amdhsa_exception_fp_ieee_invalid_op 0
		.amdhsa_exception_fp_denorm_src 0
		.amdhsa_exception_fp_ieee_div_zero 0
		.amdhsa_exception_fp_ieee_overflow 0
		.amdhsa_exception_fp_ieee_underflow 0
		.amdhsa_exception_fp_ieee_inexact 0
		.amdhsa_exception_int_div_zero 0
	.end_amdhsa_kernel
	.section	.text._ZL12soft_max_f32ILb1ELi128ELi128EfEvPKfPKT2_S1_Pf15soft_max_params,"axG",@progbits,_ZL12soft_max_f32ILb1ELi128ELi128EfEvPKfPKT2_S1_Pf15soft_max_params,comdat
.Lfunc_end19:
	.size	_ZL12soft_max_f32ILb1ELi128ELi128EfEvPKfPKT2_S1_Pf15soft_max_params, .Lfunc_end19-_ZL12soft_max_f32ILb1ELi128ELi128EfEvPKfPKT2_S1_Pf15soft_max_params
                                        ; -- End function
	.set _ZL12soft_max_f32ILb1ELi128ELi128EfEvPKfPKT2_S1_Pf15soft_max_params.num_vgpr, 18
	.set _ZL12soft_max_f32ILb1ELi128ELi128EfEvPKfPKT2_S1_Pf15soft_max_params.num_agpr, 0
	.set _ZL12soft_max_f32ILb1ELi128ELi128EfEvPKfPKT2_S1_Pf15soft_max_params.numbered_sgpr, 36
	.set _ZL12soft_max_f32ILb1ELi128ELi128EfEvPKfPKT2_S1_Pf15soft_max_params.num_named_barrier, 0
	.set _ZL12soft_max_f32ILb1ELi128ELi128EfEvPKfPKT2_S1_Pf15soft_max_params.private_seg_size, 0
	.set _ZL12soft_max_f32ILb1ELi128ELi128EfEvPKfPKT2_S1_Pf15soft_max_params.uses_vcc, 1
	.set _ZL12soft_max_f32ILb1ELi128ELi128EfEvPKfPKT2_S1_Pf15soft_max_params.uses_flat_scratch, 0
	.set _ZL12soft_max_f32ILb1ELi128ELi128EfEvPKfPKT2_S1_Pf15soft_max_params.has_dyn_sized_stack, 0
	.set _ZL12soft_max_f32ILb1ELi128ELi128EfEvPKfPKT2_S1_Pf15soft_max_params.has_recursion, 0
	.set _ZL12soft_max_f32ILb1ELi128ELi128EfEvPKfPKT2_S1_Pf15soft_max_params.has_indirect_call, 0
	.section	.AMDGPU.csdata,"",@progbits
; Kernel info:
; codeLenInByte = 4376
; TotalNumSgprs: 38
; NumVgprs: 18
; ScratchSize: 0
; MemoryBound: 0
; FloatMode: 240
; IeeeMode: 1
; LDSByteSize: 0 bytes/workgroup (compile time only)
; SGPRBlocks: 0
; VGPRBlocks: 1
; NumSGPRsForWavesPerEU: 38
; NumVGPRsForWavesPerEU: 18
; NamedBarCnt: 0
; Occupancy: 16
; WaveLimiterHint : 1
; COMPUTE_PGM_RSRC2:SCRATCH_EN: 0
; COMPUTE_PGM_RSRC2:USER_SGPR: 2
; COMPUTE_PGM_RSRC2:TRAP_HANDLER: 0
; COMPUTE_PGM_RSRC2:TGID_X_EN: 1
; COMPUTE_PGM_RSRC2:TGID_Y_EN: 1
; COMPUTE_PGM_RSRC2:TGID_Z_EN: 1
; COMPUTE_PGM_RSRC2:TIDIG_COMP_CNT: 0
	.section	.text._ZL12soft_max_f32ILb1ELi64ELi64EfEvPKfPKT2_S1_Pf15soft_max_params,"axG",@progbits,_ZL12soft_max_f32ILb1ELi64ELi64EfEvPKfPKT2_S1_Pf15soft_max_params,comdat
	.globl	_ZL12soft_max_f32ILb1ELi64ELi64EfEvPKfPKT2_S1_Pf15soft_max_params ; -- Begin function _ZL12soft_max_f32ILb1ELi64ELi64EfEvPKfPKT2_S1_Pf15soft_max_params
	.p2align	8
	.type	_ZL12soft_max_f32ILb1ELi64ELi64EfEvPKfPKT2_S1_Pf15soft_max_params,@function
_ZL12soft_max_f32ILb1ELi64ELi64EfEvPKfPKT2_S1_Pf15soft_max_params: ; @_ZL12soft_max_f32ILb1ELi64ELi64EfEvPKfPKT2_S1_Pf15soft_max_params
; %bb.0:
	s_clause 0x1
	s_load_b256 s[4:11], s[0:1], 0x68
	s_load_b64 s[12:13], s[0:1], 0x88
	s_bfe_u32 s2, ttmp6, 0x40010
	s_and_b32 s3, ttmp7, 0xffff
	s_add_co_i32 s2, s2, 1
	s_bfe_u32 s14, ttmp6, 0x40004
	s_mul_i32 s2, s3, s2
	s_getreg_b32 s28, hwreg(HW_REG_IB_STS2, 6, 4)
	s_add_co_i32 s14, s14, s2
	s_cmp_eq_u32 s28, 0
	s_cselect_b32 s2, s3, s14
	s_mov_b32 s3, 0
	s_wait_kmcnt 0x0
	s_and_b64 s[14:15], s[10:11], 0xffffffff00000000
	s_delay_alu instid0(SALU_CYCLE_1)
	s_cmp_lg_u64 s[14:15], 0
	s_cbranch_scc0 .LBB20_10
; %bb.1:
	s_ashr_i32 s14, s11, 31
	s_mov_b32 s21, s3
	s_mov_b32 s15, s14
	;; [unrolled: 1-line block ×3, first 2 shown]
	s_add_nc_u64 s[16:17], s[10:11], s[14:15]
	s_delay_alu instid0(SALU_CYCLE_1) | instskip(NEXT) | instid1(SALU_CYCLE_1)
	s_xor_b64 s[14:15], s[16:17], s[14:15]
	s_cvt_f32_u32 s11, s14
	s_cvt_f32_u32 s16, s15
	s_sub_nc_u64 s[18:19], 0, s[14:15]
	s_delay_alu instid0(SALU_CYCLE_2) | instskip(NEXT) | instid1(SALU_CYCLE_3)
	s_fmamk_f32 s11, s16, 0x4f800000, s11
	v_s_rcp_f32 s11, s11
	s_delay_alu instid0(TRANS32_DEP_1) | instskip(NEXT) | instid1(SALU_CYCLE_3)
	s_mul_f32 s11, s11, 0x5f7ffffc
	s_mul_f32 s16, s11, 0x2f800000
	s_delay_alu instid0(SALU_CYCLE_3) | instskip(NEXT) | instid1(SALU_CYCLE_3)
	s_trunc_f32 s16, s16
	s_fmamk_f32 s11, s16, 0xcf800000, s11
	s_cvt_u32_f32 s17, s16
	s_delay_alu instid0(SALU_CYCLE_2) | instskip(NEXT) | instid1(SALU_CYCLE_3)
	s_cvt_u32_f32 s16, s11
	s_mul_u64 s[22:23], s[18:19], s[16:17]
	s_delay_alu instid0(SALU_CYCLE_1)
	s_mul_hi_u32 s27, s16, s23
	s_mul_i32 s26, s16, s23
	s_mul_hi_u32 s20, s16, s22
	s_mul_i32 s24, s17, s22
	s_add_nc_u64 s[20:21], s[20:21], s[26:27]
	s_mul_hi_u32 s11, s17, s22
	s_mul_hi_u32 s29, s17, s23
	s_add_co_u32 s20, s20, s24
	s_add_co_ci_u32 s24, s21, s11
	s_mul_i32 s22, s17, s23
	s_add_co_ci_u32 s23, s29, 0
	s_delay_alu instid0(SALU_CYCLE_1) | instskip(SKIP_3) | instid1(SALU_CYCLE_1)
	s_add_nc_u64 s[20:21], s[24:25], s[22:23]
	s_mov_b32 s23, s3
	s_add_co_u32 s16, s16, s20
	s_cselect_b32 s11, -1, 0
	s_cmp_lg_u32 s11, 0
	s_add_co_ci_u32 s17, s17, s21
	s_mov_b32 s21, s3
	s_mul_u64 s[18:19], s[18:19], s[16:17]
	s_delay_alu instid0(SALU_CYCLE_1)
	s_mul_hi_u32 s25, s16, s19
	s_mul_i32 s24, s16, s19
	s_mul_hi_u32 s20, s16, s18
	s_mul_i32 s22, s17, s18
	s_add_nc_u64 s[20:21], s[20:21], s[24:25]
	s_mul_hi_u32 s11, s17, s18
	s_mul_hi_u32 s26, s17, s19
	s_mul_i32 s18, s17, s19
	s_add_co_u32 s19, s20, s22
	s_add_co_ci_u32 s22, s21, s11
	s_add_co_ci_u32 s19, s26, 0
	s_add_nc_u64 s[20:21], s[2:3], 0
	s_add_nc_u64 s[18:19], s[22:23], s[18:19]
	s_delay_alu instid0(SALU_CYCLE_1) | instskip(SKIP_1) | instid1(SALU_CYCLE_1)
	s_add_co_u32 s11, s16, s18
	s_cselect_b32 s16, -1, 0
	s_cmp_lg_u32 s16, 0
	s_add_co_ci_u32 s18, s17, s19
	s_xor_b64 s[16:17], s[20:21], 0
	s_mov_b32 s19, s3
	s_mul_hi_u32 s21, s16, s18
	s_mul_i32 s20, s16, s18
	s_mul_hi_u32 s22, s16, s11
	s_mul_hi_u32 s25, s17, s11
	s_mul_i32 s11, s17, s11
	s_add_nc_u64 s[20:21], s[22:23], s[20:21]
	s_mul_hi_u32 s24, s17, s18
	s_add_co_u32 s11, s20, s11
	s_mul_i32 s22, s17, s18
	s_add_co_ci_u32 s18, s21, s25
	s_add_co_ci_u32 s23, s24, 0
	s_delay_alu instid0(SALU_CYCLE_1) | instskip(NEXT) | instid1(SALU_CYCLE_1)
	s_add_nc_u64 s[18:19], s[18:19], s[22:23]
	s_and_b64 s[20:21], s[18:19], 0xffffffff00000000
	s_delay_alu instid0(SALU_CYCLE_1) | instskip(NEXT) | instid1(SALU_CYCLE_1)
	s_or_b32 s20, s20, s18
	s_mul_u64 s[18:19], s[14:15], s[20:21]
	s_delay_alu instid0(SALU_CYCLE_1)
	s_sub_co_u32 s11, s16, s18
	s_cselect_b32 s16, -1, 0
	s_sub_co_i32 s18, s17, s19
	s_cmp_lg_u32 s16, 0
	s_sub_co_ci_u32 s18, s18, s15
	s_sub_co_u32 s20, s11, s14
	s_cselect_b32 s21, -1, 0
	s_delay_alu instid0(SALU_CYCLE_1) | instskip(SKIP_1) | instid1(SALU_CYCLE_1)
	s_cmp_lg_u32 s21, 0
	s_sub_co_ci_u32 s22, s18, 0
	s_cmp_ge_u32 s22, s15
	s_cselect_b32 s23, -1, 0
	s_cmp_ge_u32 s20, s14
	s_cselect_b32 s24, -1, 0
	s_cmp_eq_u32 s22, s15
	s_cselect_b32 s23, s24, s23
	s_cmp_lg_u32 s21, 0
	s_sub_co_ci_u32 s18, s18, s15
	s_sub_co_u32 s21, s20, s14
	s_cselect_b32 s24, -1, 0
	s_delay_alu instid0(SALU_CYCLE_1)
	s_cmp_lg_u32 s24, 0
	s_sub_co_ci_u32 s18, s18, 0
	s_cmp_lg_u32 s23, 0
	s_cselect_b32 s20, s21, s20
	s_cselect_b32 s18, s18, s22
	s_cmp_lg_u32 s16, 0
	s_sub_co_ci_u32 s16, s17, s19
	s_delay_alu instid0(SALU_CYCLE_1)
	s_cmp_ge_u32 s16, s15
	s_cselect_b32 s17, -1, 0
	s_cmp_ge_u32 s11, s14
	s_cselect_b32 s14, -1, 0
	s_cmp_eq_u32 s16, s15
	s_cselect_b32 s14, s14, s17
	s_delay_alu instid0(SALU_CYCLE_1) | instskip(SKIP_2) | instid1(SALU_CYCLE_1)
	s_cmp_lg_u32 s14, 0
	s_cselect_b32 s15, s18, s16
	s_cselect_b32 s14, s20, s11
	s_xor_b64 s[14:15], s[14:15], 0
	s_delay_alu instid0(SALU_CYCLE_1)
	s_sub_nc_u64 s[20:21], s[14:15], 0
	s_and_not1_b32 vcc_lo, exec_lo, s3
	s_cbranch_vccnz .LBB20_3
.LBB20_2:
	v_cvt_f32_u32_e32 v1, s10
	s_sub_co_i32 s11, 0, s10
	s_mov_b32 s21, 0
	s_delay_alu instid0(VALU_DEP_1) | instskip(SKIP_1) | instid1(TRANS32_DEP_1)
	v_rcp_iflag_f32_e32 v1, v1
	v_nop
	v_mul_f32_e32 v1, 0x4f7ffffe, v1
	s_delay_alu instid0(VALU_DEP_1) | instskip(NEXT) | instid1(VALU_DEP_1)
	v_cvt_u32_f32_e32 v1, v1
	v_readfirstlane_b32 s3, v1
	s_mul_i32 s11, s11, s3
	s_delay_alu instid0(SALU_CYCLE_1) | instskip(NEXT) | instid1(SALU_CYCLE_1)
	s_mul_hi_u32 s11, s3, s11
	s_add_co_i32 s3, s3, s11
	s_delay_alu instid0(SALU_CYCLE_1) | instskip(NEXT) | instid1(SALU_CYCLE_1)
	s_mul_hi_u32 s3, s2, s3
	s_mul_i32 s3, s3, s10
	s_delay_alu instid0(SALU_CYCLE_1) | instskip(NEXT) | instid1(SALU_CYCLE_1)
	s_sub_co_i32 s3, s2, s3
	s_sub_co_i32 s11, s3, s10
	s_cmp_ge_u32 s3, s10
	s_cselect_b32 s3, s11, s3
	s_delay_alu instid0(SALU_CYCLE_1)
	s_sub_co_i32 s11, s3, s10
	s_cmp_ge_u32 s3, s10
	s_cselect_b32 s20, s11, s3
.LBB20_3:
	s_load_b64 s[10:11], s[0:1], 0x90
	s_bfe_u32 s3, ttmp6, 0x40014
	s_lshr_b32 s14, ttmp7, 16
	s_add_co_i32 s3, s3, 1
	s_bfe_u32 s15, ttmp6, 0x40008
	s_mul_i32 s3, s14, s3
	s_mov_b32 s23, 0
	s_add_co_i32 s15, s15, s3
	s_cmp_eq_u32 s28, 0
	s_cselect_b32 s22, s14, s15
	s_and_b64 s[14:15], s[12:13], 0xffffffff00000000
	s_delay_alu instid0(SALU_CYCLE_1)
	s_cmp_lg_u64 s[14:15], 0
	s_cbranch_scc0 .LBB20_11
; %bb.4:
	s_ashr_i32 s14, s13, 31
	s_mov_b32 s25, s23
	s_mov_b32 s15, s14
	;; [unrolled: 1-line block ×3, first 2 shown]
	s_add_nc_u64 s[16:17], s[12:13], s[14:15]
	s_delay_alu instid0(SALU_CYCLE_1) | instskip(NEXT) | instid1(SALU_CYCLE_1)
	s_xor_b64 s[14:15], s[16:17], s[14:15]
	s_cvt_f32_u32 s3, s14
	s_cvt_f32_u32 s13, s15
	s_sub_nc_u64 s[18:19], 0, s[14:15]
	s_delay_alu instid0(SALU_CYCLE_2) | instskip(NEXT) | instid1(SALU_CYCLE_3)
	s_fmamk_f32 s3, s13, 0x4f800000, s3
	v_s_rcp_f32 s3, s3
	s_delay_alu instid0(TRANS32_DEP_1) | instskip(NEXT) | instid1(SALU_CYCLE_3)
	s_mul_f32 s3, s3, 0x5f7ffffc
	s_mul_f32 s13, s3, 0x2f800000
	s_delay_alu instid0(SALU_CYCLE_3) | instskip(NEXT) | instid1(SALU_CYCLE_3)
	s_trunc_f32 s13, s13
	s_fmamk_f32 s3, s13, 0xcf800000, s3
	s_cvt_u32_f32 s17, s13
	s_delay_alu instid0(SALU_CYCLE_2) | instskip(NEXT) | instid1(SALU_CYCLE_3)
	s_cvt_u32_f32 s16, s3
	s_mul_u64 s[26:27], s[18:19], s[16:17]
	s_delay_alu instid0(SALU_CYCLE_1)
	s_mul_hi_u32 s35, s16, s27
	s_mul_i32 s34, s16, s27
	s_mul_hi_u32 s24, s16, s26
	s_mul_i32 s13, s17, s26
	s_add_nc_u64 s[24:25], s[24:25], s[34:35]
	s_mul_hi_u32 s3, s17, s26
	s_mul_hi_u32 s29, s17, s27
	s_add_co_u32 s13, s24, s13
	s_add_co_ci_u32 s30, s25, s3
	s_mul_i32 s26, s17, s27
	s_add_co_ci_u32 s27, s29, 0
	s_delay_alu instid0(SALU_CYCLE_1) | instskip(SKIP_3) | instid1(SALU_CYCLE_1)
	s_add_nc_u64 s[24:25], s[30:31], s[26:27]
	s_mov_b32 s27, s23
	s_add_co_u32 s16, s16, s24
	s_cselect_b32 s3, -1, 0
	s_cmp_lg_u32 s3, 0
	s_add_co_ci_u32 s17, s17, s25
	s_mov_b32 s25, s23
	s_mul_u64 s[18:19], s[18:19], s[16:17]
	s_delay_alu instid0(SALU_CYCLE_1)
	s_mul_hi_u32 s31, s16, s19
	s_mul_i32 s30, s16, s19
	s_mul_hi_u32 s24, s16, s18
	s_mul_i32 s13, s17, s18
	s_add_nc_u64 s[24:25], s[24:25], s[30:31]
	s_mul_hi_u32 s3, s17, s18
	s_mul_hi_u32 s29, s17, s19
	s_add_co_u32 s13, s24, s13
	s_add_co_ci_u32 s26, s25, s3
	s_mul_i32 s18, s17, s19
	s_add_co_ci_u32 s19, s29, 0
	s_add_nc_u64 s[24:25], s[22:23], 0
	s_add_nc_u64 s[18:19], s[26:27], s[18:19]
	s_delay_alu instid0(SALU_CYCLE_1) | instskip(SKIP_1) | instid1(SALU_CYCLE_1)
	s_add_co_u32 s3, s16, s18
	s_cselect_b32 s13, -1, 0
	s_cmp_lg_u32 s13, 0
	s_add_co_ci_u32 s13, s17, s19
	s_xor_b64 s[16:17], s[24:25], 0
	s_mov_b32 s19, s23
	s_mul_hi_u32 s25, s16, s13
	s_mul_i32 s24, s16, s13
	s_mul_hi_u32 s26, s16, s3
	s_mul_hi_u32 s18, s17, s3
	s_mul_i32 s3, s17, s3
	s_add_nc_u64 s[24:25], s[26:27], s[24:25]
	s_mul_hi_u32 s29, s17, s13
	s_add_co_u32 s3, s24, s3
	s_add_co_ci_u32 s18, s25, s18
	s_mul_i32 s26, s17, s13
	s_add_co_ci_u32 s27, s29, 0
	s_delay_alu instid0(SALU_CYCLE_1) | instskip(NEXT) | instid1(SALU_CYCLE_1)
	s_add_nc_u64 s[18:19], s[18:19], s[26:27]
	s_and_b64 s[24:25], s[18:19], 0xffffffff00000000
	s_delay_alu instid0(SALU_CYCLE_1) | instskip(NEXT) | instid1(SALU_CYCLE_1)
	s_or_b32 s24, s24, s18
	s_mul_u64 s[18:19], s[14:15], s[24:25]
	s_delay_alu instid0(SALU_CYCLE_1)
	s_sub_co_u32 s3, s16, s18
	s_cselect_b32 s13, -1, 0
	s_sub_co_i32 s16, s17, s19
	s_cmp_lg_u32 s13, 0
	s_sub_co_ci_u32 s16, s16, s15
	s_sub_co_u32 s18, s3, s14
	s_cselect_b32 s24, -1, 0
	s_delay_alu instid0(SALU_CYCLE_1) | instskip(SKIP_1) | instid1(SALU_CYCLE_1)
	s_cmp_lg_u32 s24, 0
	s_sub_co_ci_u32 s25, s16, 0
	s_cmp_ge_u32 s25, s15
	s_cselect_b32 s26, -1, 0
	s_cmp_ge_u32 s18, s14
	s_cselect_b32 s27, -1, 0
	s_cmp_eq_u32 s25, s15
	s_cselect_b32 s26, s27, s26
	s_cmp_lg_u32 s24, 0
	s_sub_co_ci_u32 s16, s16, s15
	s_sub_co_u32 s24, s18, s14
	s_cselect_b32 s27, -1, 0
	s_delay_alu instid0(SALU_CYCLE_1)
	s_cmp_lg_u32 s27, 0
	s_sub_co_ci_u32 s16, s16, 0
	s_cmp_lg_u32 s26, 0
	s_cselect_b32 s18, s24, s18
	s_cselect_b32 s16, s16, s25
	s_cmp_lg_u32 s13, 0
	s_sub_co_ci_u32 s13, s17, s19
	s_delay_alu instid0(SALU_CYCLE_1)
	s_cmp_ge_u32 s13, s15
	s_cselect_b32 s17, -1, 0
	s_cmp_ge_u32 s3, s14
	s_cselect_b32 s14, -1, 0
	s_cmp_eq_u32 s13, s15
	s_cselect_b32 s14, s14, s17
	s_delay_alu instid0(SALU_CYCLE_1) | instskip(SKIP_2) | instid1(SALU_CYCLE_1)
	s_cmp_lg_u32 s14, 0
	s_cselect_b32 s15, s16, s13
	s_cselect_b32 s14, s18, s3
	s_xor_b64 s[14:15], s[14:15], 0
	s_delay_alu instid0(SALU_CYCLE_1)
	s_sub_nc_u64 s[24:25], s[14:15], 0
	s_and_not1_b32 vcc_lo, exec_lo, s23
	s_cbranch_vccnz .LBB20_6
.LBB20_5:
	v_cvt_f32_u32_e32 v1, s12
	s_sub_co_i32 s13, 0, s12
	s_mov_b32 s25, 0
	s_delay_alu instid0(VALU_DEP_1) | instskip(SKIP_1) | instid1(TRANS32_DEP_1)
	v_rcp_iflag_f32_e32 v1, v1
	v_nop
	v_mul_f32_e32 v1, 0x4f7ffffe, v1
	s_delay_alu instid0(VALU_DEP_1) | instskip(NEXT) | instid1(VALU_DEP_1)
	v_cvt_u32_f32_e32 v1, v1
	v_readfirstlane_b32 s3, v1
	s_mul_i32 s13, s13, s3
	s_delay_alu instid0(SALU_CYCLE_1) | instskip(NEXT) | instid1(SALU_CYCLE_1)
	s_mul_hi_u32 s13, s3, s13
	s_add_co_i32 s3, s3, s13
	s_delay_alu instid0(SALU_CYCLE_1) | instskip(NEXT) | instid1(SALU_CYCLE_1)
	s_mul_hi_u32 s3, s22, s3
	s_mul_i32 s3, s3, s12
	s_delay_alu instid0(SALU_CYCLE_1) | instskip(NEXT) | instid1(SALU_CYCLE_1)
	s_sub_co_i32 s3, s22, s3
	s_sub_co_i32 s13, s3, s12
	s_cmp_ge_u32 s3, s12
	s_cselect_b32 s3, s13, s3
	s_delay_alu instid0(SALU_CYCLE_1)
	s_sub_co_i32 s13, s3, s12
	s_cmp_ge_u32 s3, s12
	s_cselect_b32 s24, s13, s3
.LBB20_6:
	s_load_b64 s[26:27], s[0:1], 0xa0
	v_mov_b32_e32 v1, 1.0
	s_wait_kmcnt 0x0
	s_cmp_le_f32 s11, 0
	s_cbranch_scc1 .LBB20_8
; %bb.7:
	s_clause 0x1
	s_load_b32 s3, s[0:1], 0x28
	s_load_b64 s[12:13], s[0:1], 0x98
	s_add_co_i32 s14, s2, 1
	s_wait_kmcnt 0x0
	s_sub_co_i32 s11, s2, s3
	s_delay_alu instid0(SALU_CYCLE_1) | instskip(NEXT) | instid1(SALU_CYCLE_1)
	s_lshl_b32 s11, s11, 1
	s_or_b32 s11, s11, 1
	s_cmp_lt_u32 s2, s3
	s_cselect_b32 s3, s14, s11
	s_cselect_b32 s12, s12, s13
	s_cvt_f32_i32 s3, s3
	s_cmp_neq_f32 s12, 1.0
	s_delay_alu instid0(SALU_CYCLE_2) | instskip(NEXT) | instid1(SALU_CYCLE_1)
	s_cselect_b32 s11, s3, 1.0
	s_cmp_neq_f32 s11, 0
	s_cselect_b32 s3, s12, 1.0
	s_delay_alu instid0(SALU_CYCLE_1) | instskip(NEXT) | instid1(VALU_DEP_1)
	v_cvt_f64_f32_e64 v[2:3], |s3|
	v_frexp_exp_i32_f64_e32 v1, v[2:3]
	v_frexp_mant_f32_e64 v2, |s3|
	s_delay_alu instid0(VALU_DEP_1) | instskip(SKIP_2) | instid1(SALU_CYCLE_1)
	v_readfirstlane_b32 s12, v2
	s_cmp_lt_f32 s12, 0x3f2aaaab
	s_cselect_b32 vcc_lo, -1, 0
	s_and_b32 s13, vcc_lo, exec_lo
	s_cselect_b32 s13, 2.0, 1.0
	s_delay_alu instid0(SALU_CYCLE_1) | instskip(NEXT) | instid1(SALU_CYCLE_3)
	s_mul_f32 s12, s12, s13
	s_add_f32 s13, s12, 1.0
	s_add_f32 s15, s12, -1.0
	s_delay_alu instid0(SALU_CYCLE_2) | instskip(SKIP_2) | instid1(SALU_CYCLE_2)
	v_s_rcp_f32 s14, s13
	s_add_f32 s18, s13, -1.0
	v_subrev_co_ci_u32_e64 v1, null, 0, v1, vcc_lo
	s_sub_f32 s12, s12, s18
	s_delay_alu instid0(TRANS32_DEP_1) | instskip(SKIP_1) | instid1(SALU_CYCLE_2)
	s_mul_f32 s16, s15, s14
	v_cvt_f32_i32_e32 v1, v1
	s_mul_f32 s17, s13, s16
	s_delay_alu instid0(SALU_CYCLE_3) | instskip(SKIP_1) | instid1(SALU_CYCLE_1)
	v_dual_mov_b32 v3, s15 :: v_dual_mov_b32 v4, s17
	s_xor_b32 s19, s17, 0x80000000
	s_fmac_f32 s19, s16, s13
	s_delay_alu instid0(SALU_CYCLE_3) | instskip(NEXT) | instid1(SALU_CYCLE_3)
	s_fmac_f32 s19, s16, s12
	s_add_f32 s12, s17, s19
	v_mov_b32_e32 v6, s19
	s_mov_b32 s17, 0x3e76c4e1
	s_delay_alu instid0(SALU_CYCLE_1) | instskip(SKIP_1) | instid1(SALU_CYCLE_2)
	s_sub_f32 s13, s15, s12
	v_dual_mov_b32 v2, s12 :: v_dual_mov_b32 v7, s12
	v_mov_b32_e32 v5, s13
	s_delay_alu instid0(VALU_DEP_1) | instskip(NEXT) | instid1(VALU_DEP_1)
	v_pk_add_f32 v[2:3], v[2:3], v[4:5] neg_lo:[0,1] neg_hi:[0,1]
	v_pk_add_f32 v[2:3], v[2:3], v[6:7] neg_lo:[0,1] neg_hi:[0,1]
	s_delay_alu instid0(VALU_DEP_1) | instskip(NEXT) | instid1(VALU_DEP_2)
	v_readfirstlane_b32 s12, v3
	v_readfirstlane_b32 s15, v2
	s_add_f32 s12, s15, s12
	s_delay_alu instid0(SALU_CYCLE_3) | instskip(NEXT) | instid1(SALU_CYCLE_3)
	s_add_f32 s12, s13, s12
	s_mul_f32 s13, s14, s12
	s_delay_alu instid0(SALU_CYCLE_3) | instskip(NEXT) | instid1(SALU_CYCLE_3)
	s_add_f32 s12, s16, s13
	s_sub_f32 s14, s12, s16
	s_mul_f32 s15, s12, s12
	s_delay_alu instid0(SALU_CYCLE_2) | instskip(NEXT) | instid1(SALU_CYCLE_2)
	s_sub_f32 s16, s13, s14
	s_xor_b32 s13, s15, 0x80000000
	s_delay_alu instid0(SALU_CYCLE_1) | instskip(NEXT) | instid1(SALU_CYCLE_1)
	s_fmac_f32 s13, s12, s12
	s_add_f32 s14, s16, s16
	s_delay_alu instid0(SALU_CYCLE_3) | instskip(NEXT) | instid1(SALU_CYCLE_3)
	s_fmac_f32 s13, s12, s14
	s_add_f32 s14, s15, s13
	s_delay_alu instid0(SALU_CYCLE_3) | instskip(SKIP_1) | instid1(SALU_CYCLE_2)
	s_fmaak_f32 s17, s14, s17, 0x3e91f4c4
	s_sub_f32 s15, s14, s15
	s_fmaak_f32 s17, s14, s17, 0x3ecccdef
	s_delay_alu instid0(SALU_CYCLE_2) | instskip(NEXT) | instid1(SALU_CYCLE_2)
	s_sub_f32 s23, s13, s15
	s_mul_f32 s18, s14, s17
	s_delay_alu instid0(SALU_CYCLE_3) | instskip(NEXT) | instid1(SALU_CYCLE_1)
	s_xor_b32 s19, s18, 0x80000000
	s_fmac_f32 s19, s14, s17
	s_delay_alu instid0(SALU_CYCLE_3) | instskip(NEXT) | instid1(SALU_CYCLE_3)
	s_fmac_f32 s19, s23, s17
	s_add_f32 s15, s18, s19
	s_delay_alu instid0(SALU_CYCLE_3) | instskip(SKIP_1) | instid1(SALU_CYCLE_2)
	s_sub_f32 s13, s15, s18
	s_add_f32 s17, s15, 0x3f2aaaaa
	s_sub_f32 s13, s19, s13
	s_delay_alu instid0(SALU_CYCLE_2) | instskip(NEXT) | instid1(SALU_CYCLE_2)
	s_add_f32 s18, s17, 0xbf2aaaaa
	s_add_f32 s13, s13, 0x31739010
	s_delay_alu instid0(SALU_CYCLE_2) | instskip(NEXT) | instid1(SALU_CYCLE_2)
	s_sub_f32 s15, s15, s18
	v_mov_b64_e32 v[2:3], s[12:13]
	s_delay_alu instid0(SALU_CYCLE_2) | instskip(NEXT) | instid1(VALU_DEP_1)
	v_mov_b64_e32 v[4:5], s[14:15]
	v_pk_mul_f32 v[6:7], v[2:3], v[4:5]
	v_pk_add_f32 v[2:3], v[2:3], v[4:5]
	v_mov_b32_e32 v9, s17
	s_delay_alu instid0(VALU_DEP_3) | instskip(NEXT) | instid1(VALU_DEP_3)
	v_xor_b32_e32 v8, 0x80000000, v6
	v_mov_b32_e32 v7, v3
	s_delay_alu instid0(VALU_DEP_2) | instskip(NEXT) | instid1(VALU_DEP_1)
	v_fmac_f32_e64 v8, s14, s12
	v_fmac_f32_e64 v8, s14, s16
	s_delay_alu instid0(VALU_DEP_1) | instskip(NEXT) | instid1(VALU_DEP_1)
	v_fmac_f32_e64 v8, s23, s12
	v_pk_add_f32 v[4:5], v[6:7], v[8:9]
	s_delay_alu instid0(VALU_DEP_1) | instskip(SKIP_1) | instid1(VALU_DEP_2)
	v_dual_mov_b32 v2, v5 :: v_dual_sub_f32 v7, s17, v5
	v_mul_f32_e32 v12, 0x3f317218, v1
	v_pk_mul_f32 v[10:11], v[4:5], v[2:3]
	s_delay_alu instid0(VALU_DEP_3) | instskip(NEXT) | instid1(VALU_DEP_3)
	v_add_f32_e32 v3, v3, v7
	v_xor_b32_e32 v7, 0x80000000, v12
	s_delay_alu instid0(VALU_DEP_3) | instskip(NEXT) | instid1(VALU_DEP_2)
	v_xor_b32_e32 v2, 0x80000000, v10
	v_dual_sub_f32 v6, v4, v6 :: v_dual_fmac_f32 v7, 0x3f317218, v1
	s_delay_alu instid0(VALU_DEP_2) | instskip(NEXT) | instid1(VALU_DEP_2)
	v_fmac_f32_e32 v2, v4, v5
	v_sub_f32_e32 v6, v8, v6
	s_delay_alu instid0(VALU_DEP_2) | instskip(NEXT) | instid1(VALU_DEP_1)
	v_fmac_f32_e32 v2, v4, v3
	v_fmac_f32_e32 v2, v6, v5
	v_fmamk_f32 v4, v1, 0xb102e308, v7
	v_ldexp_f32 v5, s12, 1
	v_ldexp_f32 v1, s16, 1
	s_delay_alu instid0(VALU_DEP_2) | instskip(NEXT) | instid1(VALU_DEP_1)
	v_dual_add_f32 v13, v10, v2 :: v_dual_mov_b32 v11, v5
	v_pk_add_f32 v[6:7], v[12:13], v[4:5]
	v_dual_mov_b32 v8, v13 :: v_dual_mov_b32 v3, v13
	s_delay_alu instid0(VALU_DEP_2) | instskip(SKIP_1) | instid1(VALU_DEP_2)
	v_dual_mov_b32 v9, v7 :: v_dual_mov_b32 v5, v6
	v_mov_b32_e32 v14, v7
	v_pk_add_f32 v[8:9], v[8:9], v[10:11] neg_lo:[0,1] neg_hi:[0,1]
	s_delay_alu instid0(VALU_DEP_1) | instskip(NEXT) | instid1(VALU_DEP_1)
	v_pk_add_f32 v[2:3], v[2:3], v[8:9] neg_lo:[0,1] neg_hi:[0,1]
	v_add_f32_e32 v1, v1, v2
	s_delay_alu instid0(VALU_DEP_1) | instskip(NEXT) | instid1(VALU_DEP_1)
	v_add_f32_e32 v13, v1, v3
	v_pk_add_f32 v[2:3], v[6:7], v[12:13]
	v_pk_add_f32 v[8:9], v[6:7], v[12:13] neg_lo:[0,1] neg_hi:[0,1]
	s_delay_alu instid0(VALU_DEP_2) | instskip(NEXT) | instid1(VALU_DEP_1)
	v_mov_b32_e32 v9, v3
	v_pk_add_f32 v[10:11], v[4:5], v[8:9]
	v_pk_add_f32 v[4:5], v[4:5], v[8:9] neg_lo:[0,1] neg_hi:[0,1]
	v_dual_mov_b32 v16, v3 :: v_dual_mov_b32 v5, v6
	s_delay_alu instid0(VALU_DEP_3) | instskip(NEXT) | instid1(VALU_DEP_3)
	v_dual_mov_b32 v12, v11 :: v_dual_mov_b32 v17, v11
	v_readfirstlane_b32 s12, v4
	s_delay_alu instid0(VALU_DEP_2) | instskip(NEXT) | instid1(VALU_DEP_2)
	v_pk_add_f32 v[8:9], v[12:13], v[6:7] neg_lo:[0,1] neg_hi:[0,1]
	v_dual_mov_b32 v4, v13 :: v_dual_mov_b32 v10, s12
	s_delay_alu instid0(VALU_DEP_2) | instskip(NEXT) | instid1(VALU_DEP_1)
	v_dual_mov_b32 v15, v8 :: v_dual_mov_b32 v1, v8
	v_pk_add_f32 v[6:7], v[16:17], v[14:15] neg_lo:[0,1] neg_hi:[0,1]
	s_delay_alu instid0(VALU_DEP_2) | instskip(SKIP_1) | instid1(VALU_DEP_3)
	v_pk_add_f32 v[2:3], v[2:3], v[0:1] neg_lo:[0,1] neg_hi:[0,1]
	v_mov_b32_e32 v2, s12
	v_pk_add_f32 v[4:5], v[4:5], v[6:7] neg_lo:[0,1] neg_hi:[0,1]
	s_delay_alu instid0(VALU_DEP_1) | instskip(NEXT) | instid1(VALU_DEP_1)
	v_pk_add_f32 v[2:3], v[2:3], v[4:5]
	v_readfirstlane_b32 s13, v2
	s_delay_alu instid0(VALU_DEP_2) | instskip(NEXT) | instid1(VALU_DEP_1)
	v_mov_b32_e32 v6, v3
	v_pk_add_f32 v[6:7], v[2:3], v[6:7]
	s_delay_alu instid0(VALU_DEP_3) | instskip(NEXT) | instid1(VALU_DEP_2)
	v_mov_b32_e32 v2, s13
	v_pk_add_f32 v[8:9], v[12:13], v[6:7]
	v_mov_b32_e32 v5, v6
	s_delay_alu instid0(VALU_DEP_2) | instskip(NEXT) | instid1(VALU_DEP_1)
	v_readfirstlane_b32 s14, v8
	v_mov_b32_e32 v3, s14
	s_delay_alu instid0(VALU_DEP_1) | instskip(NEXT) | instid1(VALU_DEP_1)
	v_pk_add_f32 v[2:3], v[2:3], v[10:11] neg_lo:[0,1] neg_hi:[0,1]
	v_readfirstlane_b32 s15, v2
	s_delay_alu instid0(VALU_DEP_2) | instskip(SKIP_1) | instid1(VALU_DEP_1)
	v_pk_add_f32 v[2:3], v[4:5], v[2:3] neg_lo:[0,1] neg_hi:[0,1]
	s_sub_f32 s13, s13, s15
	v_readfirstlane_b32 s15, v2
	s_delay_alu instid0(SALU_CYCLE_2) | instskip(SKIP_1) | instid1(SALU_CYCLE_2)
	s_sub_f32 s12, s12, s13
	v_readfirstlane_b32 s13, v3
	s_add_f32 s12, s15, s12
	s_delay_alu instid0(SALU_CYCLE_3) | instskip(NEXT) | instid1(SALU_CYCLE_3)
	s_add_f32 s12, s12, s13
	s_add_f32 s13, s14, s12
	s_delay_alu instid0(SALU_CYCLE_3) | instskip(SKIP_1) | instid1(SALU_CYCLE_2)
	s_mul_f32 s15, s11, s13
	s_sub_f32 s14, s13, s14
	s_xor_b32 s16, s15, 0x80000000
	s_delay_alu instid0(SALU_CYCLE_2) | instskip(SKIP_1) | instid1(SALU_CYCLE_3)
	s_sub_f32 s12, s12, s14
	s_fmac_f32 s16, s11, s13
	s_fmac_f32 s16, s11, s12
	v_cmp_class_f32_e64 s12, s15, 0x204
	s_delay_alu instid0(SALU_CYCLE_2) | instskip(SKIP_1) | instid1(SALU_CYCLE_2)
	s_add_f32 s13, s15, s16
	s_and_b32 s12, s12, exec_lo
	s_sub_f32 s12, s13, s15
	s_cselect_b32 s13, s15, s13
	s_delay_alu instid0(SALU_CYCLE_1) | instskip(NEXT) | instid1(SALU_CYCLE_1)
	s_and_b32 s14, s13, 0x7fffffff
	s_sub_f32 s12, s16, s12
	s_cmp_neq_f32 s14, 0x7f800000
	s_delay_alu instid0(SALU_CYCLE_2) | instskip(SKIP_2) | instid1(SALU_CYCLE_1)
	s_cselect_b32 s12, s12, 0
	s_cmp_eq_f32 s13, 0x42b17218
	s_cselect_b32 s14, 0x37000000, 0
	s_sub_f32 s13, s13, s14
	s_add_f32 s12, s14, s12
	s_delay_alu instid0(SALU_CYCLE_2) | instskip(NEXT) | instid1(SALU_CYCLE_3)
	s_mul_f32 s15, s13, 0x3fb8aa3b
	s_xor_b32 s16, s15, 0x80000000
	s_rndne_f32 s17, s15
	s_fmamk_f32 s16, s13, 0x3fb8aa3b, s16
	s_cmp_nlt_f32 s13, 0xc2ce8ed0
	s_delay_alu instid0(SALU_CYCLE_1) | instskip(NEXT) | instid1(SALU_CYCLE_1)
	s_sub_f32 s15, s15, s17
	s_fmamk_f32 s16, s13, 0x32a5705f, s16
	s_cselect_b32 vcc_lo, -1, 0
	s_cmp_ngt_f32 s13, 0x42b17218
	s_trunc_f32 s13, s11
	s_add_f32 s15, s15, s16
	s_cvt_i32_f32 s16, s17
	s_delay_alu instid0(SALU_CYCLE_2)
	v_s_exp_f32 s15, s15
	v_nop
	s_delay_alu instid0(TRANS32_DEP_1) | instid1(SALU_CYCLE_1)
	v_ldexp_f32 v1, s15, s16
	s_mul_f32 s15, s11, 0.5
	s_delay_alu instid0(VALU_DEP_1) | instskip(SKIP_3) | instid1(VALU_DEP_1)
	v_cndmask_b32_e32 v1, 0, v1, vcc_lo
	s_cselect_b32 vcc_lo, -1, 0
	s_cmp_eq_f32 s13, s11
	s_trunc_f32 s16, s15
	v_cndmask_b32_e32 v1, 0x7f800000, v1, vcc_lo
	s_cselect_b32 s17, -1, 0
	s_delay_alu instid0(SALU_CYCLE_1) | instskip(NEXT) | instid1(VALU_DEP_1)
	s_cmp_neq_f32 s16, s15
	v_fma_f32 v2, s12, v1, v1
	v_cmp_class_f32_e64 vcc_lo, v1, 0x204
	s_cselect_b32 s14, -1, 0
	s_delay_alu instid0(SALU_CYCLE_1)
	s_and_b32 s12, s17, s14
	v_cndmask_b32_e32 v1, v2, v1, vcc_lo
	s_and_b32 s14, s12, exec_lo
	s_cselect_b32 s14, s3, 1.0
	s_cmp_eq_f32 s13, s11
	v_cmp_class_f32_e64 s13, s3, 0x204
	v_bfi_b32 v1, 0x7fffffff, v1, s14
	s_cselect_b32 vcc_lo, -1, 0
	s_cmp_lt_f32 s3, 0
	s_delay_alu instid0(VALU_DEP_1) | instskip(SKIP_2) | instid1(VALU_DEP_1)
	v_cndmask_b32_e32 v2, 0x7fc00000, v1, vcc_lo
	s_cselect_b32 vcc_lo, -1, 0
	s_cmp_eq_f32 s3, 0
	v_cndmask_b32_e32 v1, v1, v2, vcc_lo
	s_cselect_b32 s14, -1, 0
	s_delay_alu instid0(SALU_CYCLE_1) | instskip(SKIP_2) | instid1(SALU_CYCLE_1)
	s_or_b32 vcc_lo, s14, s13
	s_cmp_lt_f32 s11, 0
	s_cselect_b32 s11, -1, 0
	s_xor_b32 s11, s11, s14
	s_delay_alu instid0(SALU_CYCLE_1)
	s_and_b32 s11, s11, exec_lo
	s_cselect_b32 s11, 0, 0x7f800000
	s_and_b32 s12, s12, exec_lo
	s_cselect_b32 s12, s3, 0
	s_cmp_o_f32 s3, s3
	v_mov_b32_e32 v2, s12
	s_delay_alu instid0(VALU_DEP_1) | instskip(NEXT) | instid1(VALU_DEP_1)
	v_bfi_b32 v2, 0x7fffffff, s11, v2
	v_cndmask_b32_e32 v1, v1, v2, vcc_lo
	s_cselect_b32 vcc_lo, -1, 0
	s_delay_alu instid0(VALU_DEP_1)
	v_cndmask_b32_e32 v1, 0x7fc00000, v1, vcc_lo
.LBB20_8:
	s_load_b256 s[12:19], s[0:1], 0x0
	s_wait_kmcnt 0x0
	s_cmp_lg_u64 s[16:17], 0
	s_cselect_b32 s3, -1, 0
	s_cmp_eq_u64 s[16:17], 0
	s_cbranch_scc1 .LBB20_12
; %bb.9:
	s_load_b32 s11, s[16:17], s2 offset:0x0 scale_offset
	s_branch .LBB20_13
.LBB20_10:
                                        ; implicit-def: $sgpr20_sgpr21
	s_branch .LBB20_2
.LBB20_11:
                                        ; implicit-def: $sgpr24_sgpr25
	s_branch .LBB20_5
.LBB20_12:
	s_mov_b32 s11, 0xff800000
.LBB20_13:
	s_bfe_u32 s0, ttmp6, 0x4000c
	s_and_b32 s1, ttmp6, 15
	s_add_co_i32 s0, s0, 1
	s_mul_i32 s22, s27, s22
	s_mul_i32 s0, ttmp9, s0
	v_mov_b32_e32 v8, 0
	s_add_co_i32 s1, s1, s0
	s_cmp_eq_u32 s28, 0
	s_cselect_b32 s0, ttmp9, s1
	s_add_co_i32 s1, s22, s2
	s_delay_alu instid0(SALU_CYCLE_1) | instskip(NEXT) | instid1(SALU_CYCLE_1)
	s_mul_i32 s1, s1, s26
	s_add_co_i32 s22, s1, s0
	s_mov_b32 s1, 0
	s_ashr_i32 s23, s22, 31
	s_delay_alu instid0(SALU_CYCLE_1)
	s_lshl_b64 s[26:27], s[22:23], 8
	s_cmp_eq_u64 s[14:15], 0
	s_add_nc_u64 s[12:13], s[12:13], s[26:27]
	global_load_b32 v2, v0, s[12:13] scale_offset
	s_wait_xcnt 0x0
	s_cselect_b32 s12, -1, 0
	s_cmp_lg_u64 s[14:15], 0
	s_cbranch_scc0 .LBB20_15
; %bb.14:
	s_mul_u64 s[0:1], s[4:5], s[0:1]
	s_mul_u64 s[4:5], s[20:21], s[6:7]
	;; [unrolled: 1-line block ×3, first 2 shown]
	s_add_nc_u64 s[0:1], s[4:5], s[0:1]
	s_delay_alu instid0(SALU_CYCLE_1) | instskip(NEXT) | instid1(SALU_CYCLE_1)
	s_add_nc_u64 s[0:1], s[0:1], s[6:7]
	s_lshr_b64 s[0:1], s[0:1], 2
	s_and_b32 s4, s12, exec_lo
	s_cselect_b32 s1, 0, s1
	s_cselect_b32 s0, 0, s0
	s_delay_alu instid0(SALU_CYCLE_1) | instskip(NEXT) | instid1(SALU_CYCLE_1)
	s_lshl_b64 s[0:1], s[0:1], 2
	s_add_nc_u64 s[0:1], s[14:15], s[0:1]
	global_load_b32 v3, v0, s[0:1] scale_offset
	s_wait_loadcnt 0x0
	v_mul_f32_e32 v8, v1, v3
.LBB20_15:
	v_mbcnt_lo_u32_b32 v1, -1, 0
	s_wait_loadcnt 0x0
	s_delay_alu instid0(VALU_DEP_2) | instskip(SKIP_3) | instid1(VALU_DEP_2)
	v_fmac_f32_e32 v8, s10, v2
	s_wait_kmcnt 0x0
	v_max_num_f32_e64 v2, s11, s11
	v_xor_b32_e32 v3, 16, v1
	v_dual_max_num_f32 v4, v2, v8 :: v_dual_bitop2_b32 v5, 8, v1 bitop3:0x14
	s_delay_alu instid0(VALU_DEP_2) | instskip(SKIP_1) | instid1(VALU_DEP_3)
	v_cmp_gt_i32_e32 vcc_lo, 32, v3
	v_cndmask_b32_e32 v3, v1, v3, vcc_lo
	v_cmp_gt_i32_e32 vcc_lo, 32, v5
	s_delay_alu instid0(VALU_DEP_2) | instskip(SKIP_3) | instid1(VALU_DEP_1)
	v_lshlrev_b32_e32 v2, 2, v3
	ds_bpermute_b32 v3, v2, v4
	s_wait_dscnt 0x0
	v_dual_cndmask_b32 v5, v1, v5 :: v_dual_max_num_f32 v6, v3, v3
	v_dual_lshlrev_b32 v3, 2, v5 :: v_dual_max_num_f32 v5, v4, v6
	ds_bpermute_b32 v4, v3, v5
	s_wait_dscnt 0x0
	v_dual_max_num_f32 v7, v4, v4 :: v_dual_bitop2_b32 v6, 4, v1 bitop3:0x14
	s_delay_alu instid0(VALU_DEP_1) | instskip(SKIP_1) | instid1(VALU_DEP_1)
	v_cmp_gt_i32_e32 vcc_lo, 32, v6
	v_cndmask_b32_e32 v6, v1, v6, vcc_lo
	v_dual_lshlrev_b32 v4, 2, v6 :: v_dual_max_num_f32 v6, v5, v7
	v_xor_b32_e32 v7, 2, v1
	ds_bpermute_b32 v5, v4, v6
	v_cmp_gt_i32_e32 vcc_lo, 32, v7
	s_wait_dscnt 0x0
	v_max_num_f32_e32 v9, v5, v5
	s_delay_alu instid0(VALU_DEP_1) | instskip(NEXT) | instid1(VALU_DEP_1)
	v_dual_cndmask_b32 v7, v1, v7 :: v_dual_max_num_f32 v6, v6, v9
	v_lshlrev_b32_e32 v5, 2, v7
	ds_bpermute_b32 v7, v5, v6
	s_wait_dscnt 0x0
	v_dual_max_num_f32 v7, v7, v7 :: v_dual_bitop2_b32 v9, 1, v1 bitop3:0x14
	s_delay_alu instid0(VALU_DEP_1) | instskip(NEXT) | instid1(VALU_DEP_2)
	v_cmp_gt_i32_e32 vcc_lo, 32, v9
	v_dual_max_num_f32 v10, v6, v7 :: v_dual_cndmask_b32 v1, v1, v9
	v_dual_lshrrev_b32 v7, 3, v0 :: v_dual_bitop2_b32 v9, 31, v0 bitop3:0x40
	s_delay_alu instid0(VALU_DEP_2) | instskip(SKIP_1) | instid1(VALU_DEP_3)
	v_lshlrev_b32_e32 v6, 2, v1
	v_lshl_add_u32 v1, v0, 2, 0
	v_cmp_eq_u32_e32 vcc_lo, 0, v9
	ds_bpermute_b32 v11, v6, v10
	ds_store_b32 v1, v8 offset:128
	s_and_saveexec_b32 s0, vcc_lo
	s_delay_alu instid0(SALU_CYCLE_1)
	s_xor_b32 s0, exec_lo, s0
	s_cbranch_execz .LBB20_17
; %bb.16:
	s_wait_dscnt 0x1
	v_dual_max_num_f32 v8, v11, v11 :: v_dual_max_num_f32 v10, v10, v10
	s_delay_alu instid0(VALU_DEP_1)
	v_dual_max_num_f32 v8, v10, v8 :: v_dual_add_nc_u32 v10, 0, v7
	ds_store_b32 v10, v8
.LBB20_17:
	s_or_b32 exec_lo, exec_lo, s0
	v_cmp_gt_u32_e64 s0, 2, v9
	v_mov_b32_e32 v10, 0xff800000
	v_lshl_add_u32 v8, v9, 2, 0
	s_wait_dscnt 0x0
	s_barrier_signal -1
	s_barrier_wait -1
	s_and_saveexec_b32 s1, s0
; %bb.18:
	ds_load_b32 v10, v8
; %bb.19:
	s_or_b32 exec_lo, exec_lo, s1
	s_wait_dscnt 0x0
	ds_bpermute_b32 v9, v2, v10
	v_max_num_f32_e32 v10, v10, v10
	ds_load_b32 v11, v1 offset:128
	s_wait_dscnt 0x1
	v_max_num_f32_e32 v9, v9, v9
	s_delay_alu instid0(VALU_DEP_1) | instskip(SKIP_3) | instid1(VALU_DEP_1)
	v_max_num_f32_e32 v9, v10, v9
	ds_bpermute_b32 v10, v3, v9
	s_wait_dscnt 0x0
	v_max_num_f32_e32 v10, v10, v10
	v_max_num_f32_e32 v9, v9, v10
	ds_bpermute_b32 v10, v4, v9
	s_wait_dscnt 0x0
	v_max_num_f32_e32 v10, v10, v10
	s_delay_alu instid0(VALU_DEP_1) | instskip(SKIP_3) | instid1(VALU_DEP_1)
	v_max_num_f32_e32 v9, v9, v10
	ds_bpermute_b32 v10, v5, v9
	s_wait_dscnt 0x0
	v_max_num_f32_e32 v10, v10, v10
	v_max_num_f32_e32 v9, v9, v10
	ds_bpermute_b32 v10, v6, v9
	s_wait_dscnt 0x0
	v_max_num_f32_e32 v10, v10, v10
	s_delay_alu instid0(VALU_DEP_1) | instskip(NEXT) | instid1(VALU_DEP_1)
	v_max_num_f32_e32 v9, v9, v10
	v_sub_f32_e32 v10, v11, v9
	s_delay_alu instid0(VALU_DEP_1) | instskip(NEXT) | instid1(VALU_DEP_1)
	v_mul_f32_e32 v11, 0x3fb8aa3b, v10
	v_fma_f32 v12, 0x3fb8aa3b, v10, -v11
	v_rndne_f32_e32 v13, v11
	s_delay_alu instid0(VALU_DEP_1) | instskip(NEXT) | instid1(VALU_DEP_1)
	v_dual_fmamk_f32 v12, v10, 0x32a5705f, v12 :: v_dual_sub_f32 v11, v11, v13
	v_add_f32_e32 v11, v11, v12
	v_cvt_i32_f32_e32 v12, v13
	v_cmp_ngt_f32_e64 s1, 0xc2ce8ed0, v10
	s_delay_alu instid0(VALU_DEP_3) | instskip(SKIP_1) | instid1(TRANS32_DEP_1)
	v_exp_f32_e32 v11, v11
	v_nop
	v_ldexp_f32 v11, v11, v12
	s_delay_alu instid0(VALU_DEP_1) | instskip(SKIP_1) | instid1(VALU_DEP_1)
	v_cndmask_b32_e64 v11, 0, v11, s1
	v_cmp_nlt_f32_e64 s1, 0x42b17218, v10
	v_cndmask_b32_e64 v12, 0x7f800000, v11, s1
	ds_bpermute_b32 v10, v2, v12
	ds_store_b32 v1, v12 offset:128
	s_wait_dscnt 0x1
	v_add_f32_e32 v10, v12, v10
	ds_bpermute_b32 v11, v3, v10
	s_wait_dscnt 0x0
	v_add_f32_e32 v10, v10, v11
	ds_bpermute_b32 v11, v4, v10
	;; [unrolled: 3-line block ×4, first 2 shown]
	s_and_saveexec_b32 s1, vcc_lo
	s_cbranch_execz .LBB20_21
; %bb.20:
	s_wait_dscnt 0x0
	v_add_f32_e32 v10, v10, v11
	v_add_nc_u32_e32 v7, 0, v7
	ds_store_b32 v7, v10
.LBB20_21:
	s_or_b32 exec_lo, exec_lo, s1
	v_mov_b32_e32 v7, 0
	s_wait_dscnt 0x0
	s_barrier_signal -1
	s_barrier_wait -1
	s_and_saveexec_b32 s1, s0
; %bb.22:
	ds_load_b32 v7, v8
; %bb.23:
	s_or_b32 exec_lo, exec_lo, s1
	s_wait_dscnt 0x0
	ds_bpermute_b32 v2, v2, v7
	s_and_not1_b32 vcc_lo, exec_lo, s3
	s_lshl_b64 s[0:1], s[22:23], 6
	s_wait_dscnt 0x0
	v_add_f32_e32 v2, v7, v2
	ds_bpermute_b32 v3, v3, v2
	s_wait_dscnt 0x0
	v_add_f32_e32 v2, v2, v3
	ds_bpermute_b32 v3, v4, v2
	;; [unrolled: 3-line block ×4, first 2 shown]
	s_wait_dscnt 0x0
	v_add_f32_e32 v2, v2, v3
	s_cbranch_vccnz .LBB20_25
; %bb.24:
	s_load_b32 s2, s[16:17], s2 offset:0x0 scale_offset
	s_wait_kmcnt 0x0
	v_sub_f32_e32 v3, s2, v9
	s_delay_alu instid0(VALU_DEP_1) | instskip(NEXT) | instid1(VALU_DEP_1)
	v_mul_f32_e32 v4, 0x3fb8aa3b, v3
	v_fma_f32 v5, 0x3fb8aa3b, v3, -v4
	v_rndne_f32_e32 v6, v4
	s_delay_alu instid0(VALU_DEP_1) | instskip(SKIP_1) | instid1(VALU_DEP_4)
	v_sub_f32_e32 v4, v4, v6
	v_cmp_ngt_f32_e32 vcc_lo, 0xc2ce8ed0, v3
	v_fmamk_f32 v5, v3, 0x32a5705f, v5
	s_delay_alu instid0(VALU_DEP_1) | instskip(SKIP_1) | instid1(VALU_DEP_2)
	v_add_f32_e32 v4, v4, v5
	v_cvt_i32_f32_e32 v5, v6
	v_exp_f32_e32 v4, v4
	v_nop
	s_delay_alu instid0(TRANS32_DEP_1) | instskip(NEXT) | instid1(VALU_DEP_1)
	v_ldexp_f32 v4, v4, v5
	v_cndmask_b32_e32 v4, 0, v4, vcc_lo
	v_cmp_nlt_f32_e32 vcc_lo, 0x42b17218, v3
	s_delay_alu instid0(VALU_DEP_2) | instskip(NEXT) | instid1(VALU_DEP_1)
	v_cndmask_b32_e32 v3, 0x7f800000, v4, vcc_lo
	v_add_f32_e32 v2, v2, v3
.LBB20_25:
	s_delay_alu instid0(VALU_DEP_1) | instskip(SKIP_4) | instid1(SALU_CYCLE_1)
	v_div_scale_f32 v3, null, v2, v2, 1.0
	v_div_scale_f32 v6, vcc_lo, 1.0, v2, 1.0
	ds_load_b32 v1, v1 offset:128
	v_rcp_f32_e32 v4, v3
	s_lshl_b64 s[0:1], s[0:1], 2
	s_add_nc_u64 s[0:1], s[18:19], s[0:1]
	v_nop
	s_delay_alu instid0(TRANS32_DEP_1) | instskip(NEXT) | instid1(VALU_DEP_1)
	v_fma_f32 v5, -v3, v4, 1.0
	v_fmac_f32_e32 v4, v5, v4
	s_delay_alu instid0(VALU_DEP_1) | instskip(NEXT) | instid1(VALU_DEP_1)
	v_mul_f32_e32 v5, v6, v4
	v_fma_f32 v7, -v3, v5, v6
	s_delay_alu instid0(VALU_DEP_1) | instskip(NEXT) | instid1(VALU_DEP_1)
	v_fmac_f32_e32 v5, v7, v4
	v_fma_f32 v3, -v3, v5, v6
	s_delay_alu instid0(VALU_DEP_1) | instskip(NEXT) | instid1(VALU_DEP_1)
	v_div_fmas_f32 v3, v3, v4, v5
	v_div_fixup_f32 v2, v3, v2, 1.0
	s_wait_dscnt 0x0
	s_delay_alu instid0(VALU_DEP_1)
	v_mul_f32_e32 v1, v2, v1
	global_store_b32 v0, v1, s[0:1] scale_offset
	s_endpgm
	.section	.rodata,"a",@progbits
	.p2align	6, 0x0
	.amdhsa_kernel _ZL12soft_max_f32ILb1ELi64ELi64EfEvPKfPKT2_S1_Pf15soft_max_params
		.amdhsa_group_segment_fixed_size 0
		.amdhsa_private_segment_fixed_size 0
		.amdhsa_kernarg_size 416
		.amdhsa_user_sgpr_count 2
		.amdhsa_user_sgpr_dispatch_ptr 0
		.amdhsa_user_sgpr_queue_ptr 0
		.amdhsa_user_sgpr_kernarg_segment_ptr 1
		.amdhsa_user_sgpr_dispatch_id 0
		.amdhsa_user_sgpr_kernarg_preload_length 0
		.amdhsa_user_sgpr_kernarg_preload_offset 0
		.amdhsa_user_sgpr_private_segment_size 0
		.amdhsa_wavefront_size32 1
		.amdhsa_uses_dynamic_stack 0
		.amdhsa_enable_private_segment 0
		.amdhsa_system_sgpr_workgroup_id_x 1
		.amdhsa_system_sgpr_workgroup_id_y 1
		.amdhsa_system_sgpr_workgroup_id_z 1
		.amdhsa_system_sgpr_workgroup_info 0
		.amdhsa_system_vgpr_workitem_id 0
		.amdhsa_next_free_vgpr 18
		.amdhsa_next_free_sgpr 36
		.amdhsa_named_barrier_count 0
		.amdhsa_reserve_vcc 1
		.amdhsa_float_round_mode_32 0
		.amdhsa_float_round_mode_16_64 0
		.amdhsa_float_denorm_mode_32 3
		.amdhsa_float_denorm_mode_16_64 3
		.amdhsa_fp16_overflow 0
		.amdhsa_memory_ordered 1
		.amdhsa_forward_progress 1
		.amdhsa_inst_pref_size 35
		.amdhsa_round_robin_scheduling 0
		.amdhsa_exception_fp_ieee_invalid_op 0
		.amdhsa_exception_fp_denorm_src 0
		.amdhsa_exception_fp_ieee_div_zero 0
		.amdhsa_exception_fp_ieee_overflow 0
		.amdhsa_exception_fp_ieee_underflow 0
		.amdhsa_exception_fp_ieee_inexact 0
		.amdhsa_exception_int_div_zero 0
	.end_amdhsa_kernel
	.section	.text._ZL12soft_max_f32ILb1ELi64ELi64EfEvPKfPKT2_S1_Pf15soft_max_params,"axG",@progbits,_ZL12soft_max_f32ILb1ELi64ELi64EfEvPKfPKT2_S1_Pf15soft_max_params,comdat
.Lfunc_end20:
	.size	_ZL12soft_max_f32ILb1ELi64ELi64EfEvPKfPKT2_S1_Pf15soft_max_params, .Lfunc_end20-_ZL12soft_max_f32ILb1ELi64ELi64EfEvPKfPKT2_S1_Pf15soft_max_params
                                        ; -- End function
	.set _ZL12soft_max_f32ILb1ELi64ELi64EfEvPKfPKT2_S1_Pf15soft_max_params.num_vgpr, 18
	.set _ZL12soft_max_f32ILb1ELi64ELi64EfEvPKfPKT2_S1_Pf15soft_max_params.num_agpr, 0
	.set _ZL12soft_max_f32ILb1ELi64ELi64EfEvPKfPKT2_S1_Pf15soft_max_params.numbered_sgpr, 36
	.set _ZL12soft_max_f32ILb1ELi64ELi64EfEvPKfPKT2_S1_Pf15soft_max_params.num_named_barrier, 0
	.set _ZL12soft_max_f32ILb1ELi64ELi64EfEvPKfPKT2_S1_Pf15soft_max_params.private_seg_size, 0
	.set _ZL12soft_max_f32ILb1ELi64ELi64EfEvPKfPKT2_S1_Pf15soft_max_params.uses_vcc, 1
	.set _ZL12soft_max_f32ILb1ELi64ELi64EfEvPKfPKT2_S1_Pf15soft_max_params.uses_flat_scratch, 0
	.set _ZL12soft_max_f32ILb1ELi64ELi64EfEvPKfPKT2_S1_Pf15soft_max_params.has_dyn_sized_stack, 0
	.set _ZL12soft_max_f32ILb1ELi64ELi64EfEvPKfPKT2_S1_Pf15soft_max_params.has_recursion, 0
	.set _ZL12soft_max_f32ILb1ELi64ELi64EfEvPKfPKT2_S1_Pf15soft_max_params.has_indirect_call, 0
	.section	.AMDGPU.csdata,"",@progbits
; Kernel info:
; codeLenInByte = 4376
; TotalNumSgprs: 38
; NumVgprs: 18
; ScratchSize: 0
; MemoryBound: 0
; FloatMode: 240
; IeeeMode: 1
; LDSByteSize: 0 bytes/workgroup (compile time only)
; SGPRBlocks: 0
; VGPRBlocks: 1
; NumSGPRsForWavesPerEU: 38
; NumVGPRsForWavesPerEU: 18
; NamedBarCnt: 0
; Occupancy: 16
; WaveLimiterHint : 1
; COMPUTE_PGM_RSRC2:SCRATCH_EN: 0
; COMPUTE_PGM_RSRC2:USER_SGPR: 2
; COMPUTE_PGM_RSRC2:TRAP_HANDLER: 0
; COMPUTE_PGM_RSRC2:TGID_X_EN: 1
; COMPUTE_PGM_RSRC2:TGID_Y_EN: 1
; COMPUTE_PGM_RSRC2:TGID_Z_EN: 1
; COMPUTE_PGM_RSRC2:TIDIG_COMP_CNT: 0
	.section	.text._ZL12soft_max_f32ILb1ELi32ELi32EfEvPKfPKT2_S1_Pf15soft_max_params,"axG",@progbits,_ZL12soft_max_f32ILb1ELi32ELi32EfEvPKfPKT2_S1_Pf15soft_max_params,comdat
	.globl	_ZL12soft_max_f32ILb1ELi32ELi32EfEvPKfPKT2_S1_Pf15soft_max_params ; -- Begin function _ZL12soft_max_f32ILb1ELi32ELi32EfEvPKfPKT2_S1_Pf15soft_max_params
	.p2align	8
	.type	_ZL12soft_max_f32ILb1ELi32ELi32EfEvPKfPKT2_S1_Pf15soft_max_params,@function
_ZL12soft_max_f32ILb1ELi32ELi32EfEvPKfPKT2_S1_Pf15soft_max_params: ; @_ZL12soft_max_f32ILb1ELi32ELi32EfEvPKfPKT2_S1_Pf15soft_max_params
; %bb.0:
	s_clause 0x1
	s_load_b256 s[4:11], s[0:1], 0x68
	s_load_b64 s[12:13], s[0:1], 0x88
	s_bfe_u32 s2, ttmp6, 0x40010
	s_and_b32 s3, ttmp7, 0xffff
	s_add_co_i32 s2, s2, 1
	s_bfe_u32 s14, ttmp6, 0x40004
	s_mul_i32 s2, s3, s2
	s_getreg_b32 s28, hwreg(HW_REG_IB_STS2, 6, 4)
	s_add_co_i32 s14, s14, s2
	s_cmp_eq_u32 s28, 0
	s_cselect_b32 s2, s3, s14
	s_mov_b32 s3, 0
	s_wait_kmcnt 0x0
	s_and_b64 s[14:15], s[10:11], 0xffffffff00000000
	s_delay_alu instid0(SALU_CYCLE_1)
	s_cmp_lg_u64 s[14:15], 0
	s_cbranch_scc0 .LBB21_10
; %bb.1:
	s_ashr_i32 s14, s11, 31
	s_mov_b32 s21, s3
	s_mov_b32 s15, s14
	s_mov_b32 s25, s3
	s_add_nc_u64 s[16:17], s[10:11], s[14:15]
	s_delay_alu instid0(SALU_CYCLE_1) | instskip(NEXT) | instid1(SALU_CYCLE_1)
	s_xor_b64 s[14:15], s[16:17], s[14:15]
	s_cvt_f32_u32 s11, s14
	s_cvt_f32_u32 s16, s15
	s_sub_nc_u64 s[18:19], 0, s[14:15]
	s_delay_alu instid0(SALU_CYCLE_2) | instskip(NEXT) | instid1(SALU_CYCLE_3)
	s_fmamk_f32 s11, s16, 0x4f800000, s11
	v_s_rcp_f32 s11, s11
	s_delay_alu instid0(TRANS32_DEP_1) | instskip(NEXT) | instid1(SALU_CYCLE_3)
	s_mul_f32 s11, s11, 0x5f7ffffc
	s_mul_f32 s16, s11, 0x2f800000
	s_delay_alu instid0(SALU_CYCLE_3) | instskip(NEXT) | instid1(SALU_CYCLE_3)
	s_trunc_f32 s16, s16
	s_fmamk_f32 s11, s16, 0xcf800000, s11
	s_cvt_u32_f32 s17, s16
	s_delay_alu instid0(SALU_CYCLE_2) | instskip(NEXT) | instid1(SALU_CYCLE_3)
	s_cvt_u32_f32 s16, s11
	s_mul_u64 s[22:23], s[18:19], s[16:17]
	s_delay_alu instid0(SALU_CYCLE_1)
	s_mul_hi_u32 s27, s16, s23
	s_mul_i32 s26, s16, s23
	s_mul_hi_u32 s20, s16, s22
	s_mul_i32 s24, s17, s22
	s_add_nc_u64 s[20:21], s[20:21], s[26:27]
	s_mul_hi_u32 s11, s17, s22
	s_mul_hi_u32 s29, s17, s23
	s_add_co_u32 s20, s20, s24
	s_add_co_ci_u32 s24, s21, s11
	s_mul_i32 s22, s17, s23
	s_add_co_ci_u32 s23, s29, 0
	s_delay_alu instid0(SALU_CYCLE_1) | instskip(SKIP_3) | instid1(SALU_CYCLE_1)
	s_add_nc_u64 s[20:21], s[24:25], s[22:23]
	s_mov_b32 s23, s3
	s_add_co_u32 s16, s16, s20
	s_cselect_b32 s11, -1, 0
	s_cmp_lg_u32 s11, 0
	s_add_co_ci_u32 s17, s17, s21
	s_mov_b32 s21, s3
	s_mul_u64 s[18:19], s[18:19], s[16:17]
	s_delay_alu instid0(SALU_CYCLE_1)
	s_mul_hi_u32 s25, s16, s19
	s_mul_i32 s24, s16, s19
	s_mul_hi_u32 s20, s16, s18
	s_mul_i32 s22, s17, s18
	s_add_nc_u64 s[20:21], s[20:21], s[24:25]
	s_mul_hi_u32 s11, s17, s18
	s_mul_hi_u32 s26, s17, s19
	s_mul_i32 s18, s17, s19
	s_add_co_u32 s19, s20, s22
	s_add_co_ci_u32 s22, s21, s11
	s_add_co_ci_u32 s19, s26, 0
	s_add_nc_u64 s[20:21], s[2:3], 0
	s_add_nc_u64 s[18:19], s[22:23], s[18:19]
	s_delay_alu instid0(SALU_CYCLE_1) | instskip(SKIP_1) | instid1(SALU_CYCLE_1)
	s_add_co_u32 s11, s16, s18
	s_cselect_b32 s16, -1, 0
	s_cmp_lg_u32 s16, 0
	s_add_co_ci_u32 s18, s17, s19
	s_xor_b64 s[16:17], s[20:21], 0
	s_mov_b32 s19, s3
	s_mul_hi_u32 s21, s16, s18
	s_mul_i32 s20, s16, s18
	s_mul_hi_u32 s22, s16, s11
	s_mul_hi_u32 s25, s17, s11
	s_mul_i32 s11, s17, s11
	s_add_nc_u64 s[20:21], s[22:23], s[20:21]
	s_mul_hi_u32 s24, s17, s18
	s_add_co_u32 s11, s20, s11
	s_mul_i32 s22, s17, s18
	s_add_co_ci_u32 s18, s21, s25
	s_add_co_ci_u32 s23, s24, 0
	s_delay_alu instid0(SALU_CYCLE_1) | instskip(NEXT) | instid1(SALU_CYCLE_1)
	s_add_nc_u64 s[18:19], s[18:19], s[22:23]
	s_and_b64 s[20:21], s[18:19], 0xffffffff00000000
	s_delay_alu instid0(SALU_CYCLE_1) | instskip(NEXT) | instid1(SALU_CYCLE_1)
	s_or_b32 s20, s20, s18
	s_mul_u64 s[18:19], s[14:15], s[20:21]
	s_delay_alu instid0(SALU_CYCLE_1)
	s_sub_co_u32 s11, s16, s18
	s_cselect_b32 s16, -1, 0
	s_sub_co_i32 s18, s17, s19
	s_cmp_lg_u32 s16, 0
	s_sub_co_ci_u32 s18, s18, s15
	s_sub_co_u32 s20, s11, s14
	s_cselect_b32 s21, -1, 0
	s_delay_alu instid0(SALU_CYCLE_1) | instskip(SKIP_1) | instid1(SALU_CYCLE_1)
	s_cmp_lg_u32 s21, 0
	s_sub_co_ci_u32 s22, s18, 0
	s_cmp_ge_u32 s22, s15
	s_cselect_b32 s23, -1, 0
	s_cmp_ge_u32 s20, s14
	s_cselect_b32 s24, -1, 0
	s_cmp_eq_u32 s22, s15
	s_cselect_b32 s23, s24, s23
	s_cmp_lg_u32 s21, 0
	s_sub_co_ci_u32 s18, s18, s15
	s_sub_co_u32 s21, s20, s14
	s_cselect_b32 s24, -1, 0
	s_delay_alu instid0(SALU_CYCLE_1)
	s_cmp_lg_u32 s24, 0
	s_sub_co_ci_u32 s18, s18, 0
	s_cmp_lg_u32 s23, 0
	s_cselect_b32 s20, s21, s20
	s_cselect_b32 s18, s18, s22
	s_cmp_lg_u32 s16, 0
	s_sub_co_ci_u32 s16, s17, s19
	s_delay_alu instid0(SALU_CYCLE_1)
	s_cmp_ge_u32 s16, s15
	s_cselect_b32 s17, -1, 0
	s_cmp_ge_u32 s11, s14
	s_cselect_b32 s14, -1, 0
	s_cmp_eq_u32 s16, s15
	s_cselect_b32 s14, s14, s17
	s_delay_alu instid0(SALU_CYCLE_1) | instskip(SKIP_2) | instid1(SALU_CYCLE_1)
	s_cmp_lg_u32 s14, 0
	s_cselect_b32 s15, s18, s16
	s_cselect_b32 s14, s20, s11
	s_xor_b64 s[14:15], s[14:15], 0
	s_delay_alu instid0(SALU_CYCLE_1)
	s_sub_nc_u64 s[20:21], s[14:15], 0
	s_and_not1_b32 vcc_lo, exec_lo, s3
	s_cbranch_vccnz .LBB21_3
.LBB21_2:
	v_cvt_f32_u32_e32 v1, s10
	s_sub_co_i32 s11, 0, s10
	s_mov_b32 s21, 0
	s_delay_alu instid0(VALU_DEP_1) | instskip(SKIP_1) | instid1(TRANS32_DEP_1)
	v_rcp_iflag_f32_e32 v1, v1
	v_nop
	v_mul_f32_e32 v1, 0x4f7ffffe, v1
	s_delay_alu instid0(VALU_DEP_1) | instskip(NEXT) | instid1(VALU_DEP_1)
	v_cvt_u32_f32_e32 v1, v1
	v_readfirstlane_b32 s3, v1
	s_mul_i32 s11, s11, s3
	s_delay_alu instid0(SALU_CYCLE_1) | instskip(NEXT) | instid1(SALU_CYCLE_1)
	s_mul_hi_u32 s11, s3, s11
	s_add_co_i32 s3, s3, s11
	s_delay_alu instid0(SALU_CYCLE_1) | instskip(NEXT) | instid1(SALU_CYCLE_1)
	s_mul_hi_u32 s3, s2, s3
	s_mul_i32 s3, s3, s10
	s_delay_alu instid0(SALU_CYCLE_1) | instskip(NEXT) | instid1(SALU_CYCLE_1)
	s_sub_co_i32 s3, s2, s3
	s_sub_co_i32 s11, s3, s10
	s_cmp_ge_u32 s3, s10
	s_cselect_b32 s3, s11, s3
	s_delay_alu instid0(SALU_CYCLE_1)
	s_sub_co_i32 s11, s3, s10
	s_cmp_ge_u32 s3, s10
	s_cselect_b32 s20, s11, s3
.LBB21_3:
	s_load_b64 s[10:11], s[0:1], 0x90
	s_bfe_u32 s3, ttmp6, 0x40014
	s_lshr_b32 s14, ttmp7, 16
	s_add_co_i32 s3, s3, 1
	s_bfe_u32 s15, ttmp6, 0x40008
	s_mul_i32 s3, s14, s3
	s_mov_b32 s23, 0
	s_add_co_i32 s15, s15, s3
	s_cmp_eq_u32 s28, 0
	s_cselect_b32 s22, s14, s15
	s_and_b64 s[14:15], s[12:13], 0xffffffff00000000
	s_delay_alu instid0(SALU_CYCLE_1)
	s_cmp_lg_u64 s[14:15], 0
	s_cbranch_scc0 .LBB21_11
; %bb.4:
	s_ashr_i32 s14, s13, 31
	s_mov_b32 s25, s23
	s_mov_b32 s15, s14
	;; [unrolled: 1-line block ×3, first 2 shown]
	s_add_nc_u64 s[16:17], s[12:13], s[14:15]
	s_delay_alu instid0(SALU_CYCLE_1) | instskip(NEXT) | instid1(SALU_CYCLE_1)
	s_xor_b64 s[14:15], s[16:17], s[14:15]
	s_cvt_f32_u32 s3, s14
	s_cvt_f32_u32 s13, s15
	s_sub_nc_u64 s[18:19], 0, s[14:15]
	s_delay_alu instid0(SALU_CYCLE_2) | instskip(NEXT) | instid1(SALU_CYCLE_3)
	s_fmamk_f32 s3, s13, 0x4f800000, s3
	v_s_rcp_f32 s3, s3
	s_delay_alu instid0(TRANS32_DEP_1) | instskip(NEXT) | instid1(SALU_CYCLE_3)
	s_mul_f32 s3, s3, 0x5f7ffffc
	s_mul_f32 s13, s3, 0x2f800000
	s_delay_alu instid0(SALU_CYCLE_3) | instskip(NEXT) | instid1(SALU_CYCLE_3)
	s_trunc_f32 s13, s13
	s_fmamk_f32 s3, s13, 0xcf800000, s3
	s_cvt_u32_f32 s17, s13
	s_delay_alu instid0(SALU_CYCLE_2) | instskip(NEXT) | instid1(SALU_CYCLE_3)
	s_cvt_u32_f32 s16, s3
	s_mul_u64 s[26:27], s[18:19], s[16:17]
	s_delay_alu instid0(SALU_CYCLE_1)
	s_mul_hi_u32 s35, s16, s27
	s_mul_i32 s34, s16, s27
	s_mul_hi_u32 s24, s16, s26
	s_mul_i32 s13, s17, s26
	s_add_nc_u64 s[24:25], s[24:25], s[34:35]
	s_mul_hi_u32 s3, s17, s26
	s_mul_hi_u32 s29, s17, s27
	s_add_co_u32 s13, s24, s13
	s_add_co_ci_u32 s30, s25, s3
	s_mul_i32 s26, s17, s27
	s_add_co_ci_u32 s27, s29, 0
	s_delay_alu instid0(SALU_CYCLE_1) | instskip(SKIP_3) | instid1(SALU_CYCLE_1)
	s_add_nc_u64 s[24:25], s[30:31], s[26:27]
	s_mov_b32 s27, s23
	s_add_co_u32 s16, s16, s24
	s_cselect_b32 s3, -1, 0
	s_cmp_lg_u32 s3, 0
	s_add_co_ci_u32 s17, s17, s25
	s_mov_b32 s25, s23
	s_mul_u64 s[18:19], s[18:19], s[16:17]
	s_delay_alu instid0(SALU_CYCLE_1)
	s_mul_hi_u32 s31, s16, s19
	s_mul_i32 s30, s16, s19
	s_mul_hi_u32 s24, s16, s18
	s_mul_i32 s13, s17, s18
	s_add_nc_u64 s[24:25], s[24:25], s[30:31]
	s_mul_hi_u32 s3, s17, s18
	s_mul_hi_u32 s29, s17, s19
	s_add_co_u32 s13, s24, s13
	s_add_co_ci_u32 s26, s25, s3
	s_mul_i32 s18, s17, s19
	s_add_co_ci_u32 s19, s29, 0
	s_add_nc_u64 s[24:25], s[22:23], 0
	s_add_nc_u64 s[18:19], s[26:27], s[18:19]
	s_delay_alu instid0(SALU_CYCLE_1) | instskip(SKIP_1) | instid1(SALU_CYCLE_1)
	s_add_co_u32 s3, s16, s18
	s_cselect_b32 s13, -1, 0
	s_cmp_lg_u32 s13, 0
	s_add_co_ci_u32 s13, s17, s19
	s_xor_b64 s[16:17], s[24:25], 0
	s_mov_b32 s19, s23
	s_mul_hi_u32 s25, s16, s13
	s_mul_i32 s24, s16, s13
	s_mul_hi_u32 s26, s16, s3
	s_mul_hi_u32 s18, s17, s3
	s_mul_i32 s3, s17, s3
	s_add_nc_u64 s[24:25], s[26:27], s[24:25]
	s_mul_hi_u32 s29, s17, s13
	s_add_co_u32 s3, s24, s3
	s_add_co_ci_u32 s18, s25, s18
	s_mul_i32 s26, s17, s13
	s_add_co_ci_u32 s27, s29, 0
	s_delay_alu instid0(SALU_CYCLE_1) | instskip(NEXT) | instid1(SALU_CYCLE_1)
	s_add_nc_u64 s[18:19], s[18:19], s[26:27]
	s_and_b64 s[24:25], s[18:19], 0xffffffff00000000
	s_delay_alu instid0(SALU_CYCLE_1) | instskip(NEXT) | instid1(SALU_CYCLE_1)
	s_or_b32 s24, s24, s18
	s_mul_u64 s[18:19], s[14:15], s[24:25]
	s_delay_alu instid0(SALU_CYCLE_1)
	s_sub_co_u32 s3, s16, s18
	s_cselect_b32 s13, -1, 0
	s_sub_co_i32 s16, s17, s19
	s_cmp_lg_u32 s13, 0
	s_sub_co_ci_u32 s16, s16, s15
	s_sub_co_u32 s18, s3, s14
	s_cselect_b32 s24, -1, 0
	s_delay_alu instid0(SALU_CYCLE_1) | instskip(SKIP_1) | instid1(SALU_CYCLE_1)
	s_cmp_lg_u32 s24, 0
	s_sub_co_ci_u32 s25, s16, 0
	s_cmp_ge_u32 s25, s15
	s_cselect_b32 s26, -1, 0
	s_cmp_ge_u32 s18, s14
	s_cselect_b32 s27, -1, 0
	s_cmp_eq_u32 s25, s15
	s_cselect_b32 s26, s27, s26
	s_cmp_lg_u32 s24, 0
	s_sub_co_ci_u32 s16, s16, s15
	s_sub_co_u32 s24, s18, s14
	s_cselect_b32 s27, -1, 0
	s_delay_alu instid0(SALU_CYCLE_1)
	s_cmp_lg_u32 s27, 0
	s_sub_co_ci_u32 s16, s16, 0
	s_cmp_lg_u32 s26, 0
	s_cselect_b32 s18, s24, s18
	s_cselect_b32 s16, s16, s25
	s_cmp_lg_u32 s13, 0
	s_sub_co_ci_u32 s13, s17, s19
	s_delay_alu instid0(SALU_CYCLE_1)
	s_cmp_ge_u32 s13, s15
	s_cselect_b32 s17, -1, 0
	s_cmp_ge_u32 s3, s14
	s_cselect_b32 s14, -1, 0
	s_cmp_eq_u32 s13, s15
	s_cselect_b32 s14, s14, s17
	s_delay_alu instid0(SALU_CYCLE_1) | instskip(SKIP_2) | instid1(SALU_CYCLE_1)
	s_cmp_lg_u32 s14, 0
	s_cselect_b32 s15, s16, s13
	s_cselect_b32 s14, s18, s3
	s_xor_b64 s[14:15], s[14:15], 0
	s_delay_alu instid0(SALU_CYCLE_1)
	s_sub_nc_u64 s[24:25], s[14:15], 0
	s_and_not1_b32 vcc_lo, exec_lo, s23
	s_cbranch_vccnz .LBB21_6
.LBB21_5:
	v_cvt_f32_u32_e32 v1, s12
	s_sub_co_i32 s13, 0, s12
	s_mov_b32 s25, 0
	s_delay_alu instid0(VALU_DEP_1) | instskip(SKIP_1) | instid1(TRANS32_DEP_1)
	v_rcp_iflag_f32_e32 v1, v1
	v_nop
	v_mul_f32_e32 v1, 0x4f7ffffe, v1
	s_delay_alu instid0(VALU_DEP_1) | instskip(NEXT) | instid1(VALU_DEP_1)
	v_cvt_u32_f32_e32 v1, v1
	v_readfirstlane_b32 s3, v1
	s_mul_i32 s13, s13, s3
	s_delay_alu instid0(SALU_CYCLE_1) | instskip(NEXT) | instid1(SALU_CYCLE_1)
	s_mul_hi_u32 s13, s3, s13
	s_add_co_i32 s3, s3, s13
	s_delay_alu instid0(SALU_CYCLE_1) | instskip(NEXT) | instid1(SALU_CYCLE_1)
	s_mul_hi_u32 s3, s22, s3
	s_mul_i32 s3, s3, s12
	s_delay_alu instid0(SALU_CYCLE_1) | instskip(NEXT) | instid1(SALU_CYCLE_1)
	s_sub_co_i32 s3, s22, s3
	s_sub_co_i32 s13, s3, s12
	s_cmp_ge_u32 s3, s12
	s_cselect_b32 s3, s13, s3
	s_delay_alu instid0(SALU_CYCLE_1)
	s_sub_co_i32 s13, s3, s12
	s_cmp_ge_u32 s3, s12
	s_cselect_b32 s24, s13, s3
.LBB21_6:
	s_load_b64 s[26:27], s[0:1], 0xa0
	v_mov_b32_e32 v1, 1.0
	s_wait_kmcnt 0x0
	s_cmp_le_f32 s11, 0
	s_cbranch_scc1 .LBB21_8
; %bb.7:
	s_clause 0x1
	s_load_b32 s3, s[0:1], 0x28
	s_load_b64 s[12:13], s[0:1], 0x98
	s_add_co_i32 s14, s2, 1
	s_wait_kmcnt 0x0
	s_sub_co_i32 s11, s2, s3
	s_delay_alu instid0(SALU_CYCLE_1) | instskip(NEXT) | instid1(SALU_CYCLE_1)
	s_lshl_b32 s11, s11, 1
	s_or_b32 s11, s11, 1
	s_cmp_lt_u32 s2, s3
	s_cselect_b32 s3, s14, s11
	s_cselect_b32 s12, s12, s13
	s_cvt_f32_i32 s3, s3
	s_cmp_neq_f32 s12, 1.0
	s_delay_alu instid0(SALU_CYCLE_2) | instskip(NEXT) | instid1(SALU_CYCLE_1)
	s_cselect_b32 s11, s3, 1.0
	s_cmp_neq_f32 s11, 0
	s_cselect_b32 s3, s12, 1.0
	s_delay_alu instid0(SALU_CYCLE_1) | instskip(NEXT) | instid1(VALU_DEP_1)
	v_cvt_f64_f32_e64 v[2:3], |s3|
	v_frexp_exp_i32_f64_e32 v1, v[2:3]
	v_frexp_mant_f32_e64 v2, |s3|
	s_delay_alu instid0(VALU_DEP_1) | instskip(SKIP_2) | instid1(SALU_CYCLE_1)
	v_readfirstlane_b32 s12, v2
	s_cmp_lt_f32 s12, 0x3f2aaaab
	s_cselect_b32 vcc_lo, -1, 0
	s_and_b32 s13, vcc_lo, exec_lo
	s_cselect_b32 s13, 2.0, 1.0
	s_delay_alu instid0(SALU_CYCLE_1) | instskip(NEXT) | instid1(SALU_CYCLE_3)
	s_mul_f32 s12, s12, s13
	s_add_f32 s13, s12, 1.0
	s_add_f32 s15, s12, -1.0
	s_delay_alu instid0(SALU_CYCLE_2) | instskip(SKIP_2) | instid1(SALU_CYCLE_2)
	v_s_rcp_f32 s14, s13
	s_add_f32 s18, s13, -1.0
	v_subrev_co_ci_u32_e64 v1, null, 0, v1, vcc_lo
	s_sub_f32 s12, s12, s18
	s_delay_alu instid0(TRANS32_DEP_1) | instskip(SKIP_1) | instid1(SALU_CYCLE_2)
	s_mul_f32 s16, s15, s14
	v_cvt_f32_i32_e32 v1, v1
	s_mul_f32 s17, s13, s16
	s_delay_alu instid0(SALU_CYCLE_3) | instskip(SKIP_1) | instid1(SALU_CYCLE_1)
	v_dual_mov_b32 v3, s15 :: v_dual_mov_b32 v4, s17
	s_xor_b32 s19, s17, 0x80000000
	s_fmac_f32 s19, s16, s13
	s_delay_alu instid0(SALU_CYCLE_3) | instskip(NEXT) | instid1(SALU_CYCLE_3)
	s_fmac_f32 s19, s16, s12
	s_add_f32 s12, s17, s19
	v_mov_b32_e32 v6, s19
	s_mov_b32 s17, 0x3e76c4e1
	s_delay_alu instid0(SALU_CYCLE_1) | instskip(SKIP_1) | instid1(SALU_CYCLE_2)
	s_sub_f32 s13, s15, s12
	v_dual_mov_b32 v2, s12 :: v_dual_mov_b32 v7, s12
	v_mov_b32_e32 v5, s13
	s_delay_alu instid0(VALU_DEP_1) | instskip(NEXT) | instid1(VALU_DEP_1)
	v_pk_add_f32 v[2:3], v[2:3], v[4:5] neg_lo:[0,1] neg_hi:[0,1]
	v_pk_add_f32 v[2:3], v[2:3], v[6:7] neg_lo:[0,1] neg_hi:[0,1]
	s_delay_alu instid0(VALU_DEP_1) | instskip(NEXT) | instid1(VALU_DEP_2)
	v_readfirstlane_b32 s12, v3
	v_readfirstlane_b32 s15, v2
	s_add_f32 s12, s15, s12
	s_delay_alu instid0(SALU_CYCLE_3) | instskip(NEXT) | instid1(SALU_CYCLE_3)
	s_add_f32 s12, s13, s12
	s_mul_f32 s13, s14, s12
	s_delay_alu instid0(SALU_CYCLE_3) | instskip(NEXT) | instid1(SALU_CYCLE_3)
	s_add_f32 s12, s16, s13
	s_sub_f32 s14, s12, s16
	s_mul_f32 s15, s12, s12
	s_delay_alu instid0(SALU_CYCLE_2) | instskip(NEXT) | instid1(SALU_CYCLE_2)
	s_sub_f32 s16, s13, s14
	s_xor_b32 s13, s15, 0x80000000
	s_delay_alu instid0(SALU_CYCLE_1) | instskip(NEXT) | instid1(SALU_CYCLE_1)
	s_fmac_f32 s13, s12, s12
	s_add_f32 s14, s16, s16
	s_delay_alu instid0(SALU_CYCLE_3) | instskip(NEXT) | instid1(SALU_CYCLE_3)
	s_fmac_f32 s13, s12, s14
	s_add_f32 s14, s15, s13
	s_delay_alu instid0(SALU_CYCLE_3) | instskip(SKIP_1) | instid1(SALU_CYCLE_2)
	s_fmaak_f32 s17, s14, s17, 0x3e91f4c4
	s_sub_f32 s15, s14, s15
	s_fmaak_f32 s17, s14, s17, 0x3ecccdef
	s_delay_alu instid0(SALU_CYCLE_2) | instskip(NEXT) | instid1(SALU_CYCLE_2)
	s_sub_f32 s23, s13, s15
	s_mul_f32 s18, s14, s17
	s_delay_alu instid0(SALU_CYCLE_3) | instskip(NEXT) | instid1(SALU_CYCLE_1)
	s_xor_b32 s19, s18, 0x80000000
	s_fmac_f32 s19, s14, s17
	s_delay_alu instid0(SALU_CYCLE_3) | instskip(NEXT) | instid1(SALU_CYCLE_3)
	s_fmac_f32 s19, s23, s17
	s_add_f32 s15, s18, s19
	s_delay_alu instid0(SALU_CYCLE_3) | instskip(SKIP_1) | instid1(SALU_CYCLE_2)
	s_sub_f32 s13, s15, s18
	s_add_f32 s17, s15, 0x3f2aaaaa
	s_sub_f32 s13, s19, s13
	s_delay_alu instid0(SALU_CYCLE_2) | instskip(NEXT) | instid1(SALU_CYCLE_2)
	s_add_f32 s18, s17, 0xbf2aaaaa
	s_add_f32 s13, s13, 0x31739010
	s_delay_alu instid0(SALU_CYCLE_2) | instskip(NEXT) | instid1(SALU_CYCLE_2)
	s_sub_f32 s15, s15, s18
	v_mov_b64_e32 v[2:3], s[12:13]
	s_delay_alu instid0(SALU_CYCLE_2) | instskip(NEXT) | instid1(VALU_DEP_1)
	v_mov_b64_e32 v[4:5], s[14:15]
	v_pk_mul_f32 v[6:7], v[2:3], v[4:5]
	v_pk_add_f32 v[2:3], v[2:3], v[4:5]
	v_mov_b32_e32 v9, s17
	s_delay_alu instid0(VALU_DEP_3) | instskip(NEXT) | instid1(VALU_DEP_3)
	v_xor_b32_e32 v8, 0x80000000, v6
	v_mov_b32_e32 v7, v3
	s_delay_alu instid0(VALU_DEP_2) | instskip(NEXT) | instid1(VALU_DEP_1)
	v_fmac_f32_e64 v8, s14, s12
	v_fmac_f32_e64 v8, s14, s16
	s_delay_alu instid0(VALU_DEP_1) | instskip(NEXT) | instid1(VALU_DEP_1)
	v_fmac_f32_e64 v8, s23, s12
	v_pk_add_f32 v[4:5], v[6:7], v[8:9]
	s_delay_alu instid0(VALU_DEP_1) | instskip(SKIP_1) | instid1(VALU_DEP_2)
	v_dual_mov_b32 v2, v5 :: v_dual_sub_f32 v7, s17, v5
	v_mul_f32_e32 v12, 0x3f317218, v1
	v_pk_mul_f32 v[10:11], v[4:5], v[2:3]
	s_delay_alu instid0(VALU_DEP_3) | instskip(NEXT) | instid1(VALU_DEP_3)
	v_add_f32_e32 v3, v3, v7
	v_xor_b32_e32 v7, 0x80000000, v12
	s_delay_alu instid0(VALU_DEP_3) | instskip(NEXT) | instid1(VALU_DEP_2)
	v_xor_b32_e32 v2, 0x80000000, v10
	v_dual_sub_f32 v6, v4, v6 :: v_dual_fmac_f32 v7, 0x3f317218, v1
	s_delay_alu instid0(VALU_DEP_2) | instskip(NEXT) | instid1(VALU_DEP_2)
	v_fmac_f32_e32 v2, v4, v5
	v_sub_f32_e32 v6, v8, v6
	s_delay_alu instid0(VALU_DEP_2) | instskip(NEXT) | instid1(VALU_DEP_1)
	v_fmac_f32_e32 v2, v4, v3
	v_fmac_f32_e32 v2, v6, v5
	v_fmamk_f32 v4, v1, 0xb102e308, v7
	v_ldexp_f32 v5, s12, 1
	v_ldexp_f32 v1, s16, 1
	s_delay_alu instid0(VALU_DEP_2) | instskip(NEXT) | instid1(VALU_DEP_1)
	v_dual_add_f32 v13, v10, v2 :: v_dual_mov_b32 v11, v5
	v_pk_add_f32 v[6:7], v[12:13], v[4:5]
	v_dual_mov_b32 v8, v13 :: v_dual_mov_b32 v3, v13
	s_delay_alu instid0(VALU_DEP_2) | instskip(SKIP_1) | instid1(VALU_DEP_2)
	v_dual_mov_b32 v9, v7 :: v_dual_mov_b32 v5, v6
	v_mov_b32_e32 v14, v7
	v_pk_add_f32 v[8:9], v[8:9], v[10:11] neg_lo:[0,1] neg_hi:[0,1]
	s_delay_alu instid0(VALU_DEP_1) | instskip(NEXT) | instid1(VALU_DEP_1)
	v_pk_add_f32 v[2:3], v[2:3], v[8:9] neg_lo:[0,1] neg_hi:[0,1]
	v_add_f32_e32 v1, v1, v2
	s_delay_alu instid0(VALU_DEP_1) | instskip(NEXT) | instid1(VALU_DEP_1)
	v_add_f32_e32 v13, v1, v3
	v_pk_add_f32 v[2:3], v[6:7], v[12:13]
	v_pk_add_f32 v[8:9], v[6:7], v[12:13] neg_lo:[0,1] neg_hi:[0,1]
	s_delay_alu instid0(VALU_DEP_2) | instskip(NEXT) | instid1(VALU_DEP_1)
	v_mov_b32_e32 v9, v3
	v_pk_add_f32 v[10:11], v[4:5], v[8:9]
	v_pk_add_f32 v[4:5], v[4:5], v[8:9] neg_lo:[0,1] neg_hi:[0,1]
	v_dual_mov_b32 v16, v3 :: v_dual_mov_b32 v5, v6
	s_delay_alu instid0(VALU_DEP_3) | instskip(NEXT) | instid1(VALU_DEP_3)
	v_dual_mov_b32 v12, v11 :: v_dual_mov_b32 v17, v11
	v_readfirstlane_b32 s12, v4
	s_delay_alu instid0(VALU_DEP_2) | instskip(NEXT) | instid1(VALU_DEP_2)
	v_pk_add_f32 v[8:9], v[12:13], v[6:7] neg_lo:[0,1] neg_hi:[0,1]
	v_dual_mov_b32 v4, v13 :: v_dual_mov_b32 v10, s12
	s_delay_alu instid0(VALU_DEP_2) | instskip(NEXT) | instid1(VALU_DEP_1)
	v_dual_mov_b32 v15, v8 :: v_dual_mov_b32 v1, v8
	v_pk_add_f32 v[6:7], v[16:17], v[14:15] neg_lo:[0,1] neg_hi:[0,1]
	s_delay_alu instid0(VALU_DEP_2) | instskip(SKIP_1) | instid1(VALU_DEP_3)
	v_pk_add_f32 v[2:3], v[2:3], v[0:1] neg_lo:[0,1] neg_hi:[0,1]
	v_mov_b32_e32 v2, s12
	v_pk_add_f32 v[4:5], v[4:5], v[6:7] neg_lo:[0,1] neg_hi:[0,1]
	s_delay_alu instid0(VALU_DEP_1) | instskip(NEXT) | instid1(VALU_DEP_1)
	v_pk_add_f32 v[2:3], v[2:3], v[4:5]
	v_readfirstlane_b32 s13, v2
	s_delay_alu instid0(VALU_DEP_2) | instskip(NEXT) | instid1(VALU_DEP_1)
	v_mov_b32_e32 v6, v3
	v_pk_add_f32 v[6:7], v[2:3], v[6:7]
	s_delay_alu instid0(VALU_DEP_3) | instskip(NEXT) | instid1(VALU_DEP_2)
	v_mov_b32_e32 v2, s13
	v_pk_add_f32 v[8:9], v[12:13], v[6:7]
	v_mov_b32_e32 v5, v6
	s_delay_alu instid0(VALU_DEP_2) | instskip(NEXT) | instid1(VALU_DEP_1)
	v_readfirstlane_b32 s14, v8
	v_mov_b32_e32 v3, s14
	s_delay_alu instid0(VALU_DEP_1) | instskip(NEXT) | instid1(VALU_DEP_1)
	v_pk_add_f32 v[2:3], v[2:3], v[10:11] neg_lo:[0,1] neg_hi:[0,1]
	v_readfirstlane_b32 s15, v2
	s_delay_alu instid0(VALU_DEP_2) | instskip(SKIP_1) | instid1(VALU_DEP_1)
	v_pk_add_f32 v[2:3], v[4:5], v[2:3] neg_lo:[0,1] neg_hi:[0,1]
	s_sub_f32 s13, s13, s15
	v_readfirstlane_b32 s15, v2
	s_delay_alu instid0(SALU_CYCLE_2) | instskip(SKIP_1) | instid1(SALU_CYCLE_2)
	s_sub_f32 s12, s12, s13
	v_readfirstlane_b32 s13, v3
	s_add_f32 s12, s15, s12
	s_delay_alu instid0(SALU_CYCLE_3) | instskip(NEXT) | instid1(SALU_CYCLE_3)
	s_add_f32 s12, s12, s13
	s_add_f32 s13, s14, s12
	s_delay_alu instid0(SALU_CYCLE_3) | instskip(SKIP_1) | instid1(SALU_CYCLE_2)
	s_mul_f32 s15, s11, s13
	s_sub_f32 s14, s13, s14
	s_xor_b32 s16, s15, 0x80000000
	s_delay_alu instid0(SALU_CYCLE_2) | instskip(SKIP_1) | instid1(SALU_CYCLE_3)
	s_sub_f32 s12, s12, s14
	s_fmac_f32 s16, s11, s13
	s_fmac_f32 s16, s11, s12
	v_cmp_class_f32_e64 s12, s15, 0x204
	s_delay_alu instid0(SALU_CYCLE_2) | instskip(SKIP_1) | instid1(SALU_CYCLE_2)
	s_add_f32 s13, s15, s16
	s_and_b32 s12, s12, exec_lo
	s_sub_f32 s12, s13, s15
	s_cselect_b32 s13, s15, s13
	s_delay_alu instid0(SALU_CYCLE_1) | instskip(NEXT) | instid1(SALU_CYCLE_1)
	s_and_b32 s14, s13, 0x7fffffff
	s_sub_f32 s12, s16, s12
	s_cmp_neq_f32 s14, 0x7f800000
	s_delay_alu instid0(SALU_CYCLE_2) | instskip(SKIP_2) | instid1(SALU_CYCLE_1)
	s_cselect_b32 s12, s12, 0
	s_cmp_eq_f32 s13, 0x42b17218
	s_cselect_b32 s14, 0x37000000, 0
	s_sub_f32 s13, s13, s14
	s_add_f32 s12, s14, s12
	s_delay_alu instid0(SALU_CYCLE_2) | instskip(NEXT) | instid1(SALU_CYCLE_3)
	s_mul_f32 s15, s13, 0x3fb8aa3b
	s_xor_b32 s16, s15, 0x80000000
	s_rndne_f32 s17, s15
	s_fmamk_f32 s16, s13, 0x3fb8aa3b, s16
	s_cmp_nlt_f32 s13, 0xc2ce8ed0
	s_delay_alu instid0(SALU_CYCLE_1) | instskip(NEXT) | instid1(SALU_CYCLE_1)
	s_sub_f32 s15, s15, s17
	s_fmamk_f32 s16, s13, 0x32a5705f, s16
	s_cselect_b32 vcc_lo, -1, 0
	s_cmp_ngt_f32 s13, 0x42b17218
	s_trunc_f32 s13, s11
	s_add_f32 s15, s15, s16
	s_cvt_i32_f32 s16, s17
	s_delay_alu instid0(SALU_CYCLE_2)
	v_s_exp_f32 s15, s15
	v_nop
	s_delay_alu instid0(TRANS32_DEP_1) | instid1(SALU_CYCLE_1)
	v_ldexp_f32 v1, s15, s16
	s_mul_f32 s15, s11, 0.5
	s_delay_alu instid0(VALU_DEP_1) | instskip(SKIP_3) | instid1(VALU_DEP_1)
	v_cndmask_b32_e32 v1, 0, v1, vcc_lo
	s_cselect_b32 vcc_lo, -1, 0
	s_cmp_eq_f32 s13, s11
	s_trunc_f32 s16, s15
	v_cndmask_b32_e32 v1, 0x7f800000, v1, vcc_lo
	s_cselect_b32 s17, -1, 0
	s_delay_alu instid0(SALU_CYCLE_1) | instskip(NEXT) | instid1(VALU_DEP_1)
	s_cmp_neq_f32 s16, s15
	v_fma_f32 v2, s12, v1, v1
	v_cmp_class_f32_e64 vcc_lo, v1, 0x204
	s_cselect_b32 s14, -1, 0
	s_delay_alu instid0(SALU_CYCLE_1)
	s_and_b32 s12, s17, s14
	v_cndmask_b32_e32 v1, v2, v1, vcc_lo
	s_and_b32 s14, s12, exec_lo
	s_cselect_b32 s14, s3, 1.0
	s_cmp_eq_f32 s13, s11
	v_cmp_class_f32_e64 s13, s3, 0x204
	v_bfi_b32 v1, 0x7fffffff, v1, s14
	s_cselect_b32 vcc_lo, -1, 0
	s_cmp_lt_f32 s3, 0
	s_delay_alu instid0(VALU_DEP_1) | instskip(SKIP_2) | instid1(VALU_DEP_1)
	v_cndmask_b32_e32 v2, 0x7fc00000, v1, vcc_lo
	s_cselect_b32 vcc_lo, -1, 0
	s_cmp_eq_f32 s3, 0
	v_cndmask_b32_e32 v1, v1, v2, vcc_lo
	s_cselect_b32 s14, -1, 0
	s_delay_alu instid0(SALU_CYCLE_1) | instskip(SKIP_2) | instid1(SALU_CYCLE_1)
	s_or_b32 vcc_lo, s14, s13
	s_cmp_lt_f32 s11, 0
	s_cselect_b32 s11, -1, 0
	s_xor_b32 s11, s11, s14
	s_delay_alu instid0(SALU_CYCLE_1)
	s_and_b32 s11, s11, exec_lo
	s_cselect_b32 s11, 0, 0x7f800000
	s_and_b32 s12, s12, exec_lo
	s_cselect_b32 s12, s3, 0
	s_cmp_o_f32 s3, s3
	v_mov_b32_e32 v2, s12
	s_delay_alu instid0(VALU_DEP_1) | instskip(NEXT) | instid1(VALU_DEP_1)
	v_bfi_b32 v2, 0x7fffffff, s11, v2
	v_cndmask_b32_e32 v1, v1, v2, vcc_lo
	s_cselect_b32 vcc_lo, -1, 0
	s_delay_alu instid0(VALU_DEP_1)
	v_cndmask_b32_e32 v1, 0x7fc00000, v1, vcc_lo
.LBB21_8:
	s_load_b256 s[12:19], s[0:1], 0x0
	s_wait_kmcnt 0x0
	s_cmp_lg_u64 s[16:17], 0
	s_cselect_b32 s3, -1, 0
	s_cmp_eq_u64 s[16:17], 0
	s_cbranch_scc1 .LBB21_12
; %bb.9:
	s_load_b32 s11, s[16:17], s2 offset:0x0 scale_offset
	s_branch .LBB21_13
.LBB21_10:
                                        ; implicit-def: $sgpr20_sgpr21
	s_branch .LBB21_2
.LBB21_11:
                                        ; implicit-def: $sgpr24_sgpr25
	s_branch .LBB21_5
.LBB21_12:
	s_mov_b32 s11, 0xff800000
.LBB21_13:
	s_bfe_u32 s0, ttmp6, 0x4000c
	s_and_b32 s1, ttmp6, 15
	s_add_co_i32 s0, s0, 1
	v_mov_b32_e32 v2, 0
	s_mul_i32 s0, ttmp9, s0
	s_mov_b32 s23, 0
	s_add_co_i32 s1, s1, s0
	s_cmp_eq_u32 s28, 0
	s_mul_i32 s0, s27, s22
	s_cselect_b32 s22, ttmp9, s1
	s_add_co_i32 s0, s0, s2
	s_delay_alu instid0(SALU_CYCLE_1) | instskip(NEXT) | instid1(SALU_CYCLE_1)
	s_mul_i32 s0, s0, s26
	s_add_co_i32 s0, s0, s22
	s_delay_alu instid0(SALU_CYCLE_1) | instskip(NEXT) | instid1(SALU_CYCLE_1)
	s_ashr_i32 s1, s0, 31
	s_lshl_b64 s[26:27], s[0:1], 7
	s_cmp_eq_u64 s[14:15], 0
	s_add_nc_u64 s[12:13], s[12:13], s[26:27]
	global_load_b32 v3, v0, s[12:13] scale_offset
	s_wait_xcnt 0x0
	s_cselect_b32 s12, -1, 0
	s_delay_alu instid0(SALU_CYCLE_1)
	s_and_b32 vcc_lo, exec_lo, s12
	s_cbranch_vccnz .LBB21_15
; %bb.14:
	s_mul_u64 s[4:5], s[4:5], s[22:23]
	s_mul_u64 s[6:7], s[20:21], s[6:7]
	;; [unrolled: 1-line block ×3, first 2 shown]
	s_add_nc_u64 s[4:5], s[6:7], s[4:5]
	s_delay_alu instid0(SALU_CYCLE_1) | instskip(NEXT) | instid1(SALU_CYCLE_1)
	s_add_nc_u64 s[4:5], s[4:5], s[8:9]
	s_lshr_b64 s[4:5], s[4:5], 2
	s_and_b32 s6, exec_lo, s12
	s_cselect_b32 s5, 0, s5
	s_cselect_b32 s4, 0, s4
	s_delay_alu instid0(SALU_CYCLE_1) | instskip(NEXT) | instid1(SALU_CYCLE_1)
	s_lshl_b64 s[4:5], s[4:5], 2
	s_add_nc_u64 s[4:5], s[14:15], s[4:5]
	global_load_b32 v2, v0, s[4:5] scale_offset
	s_wait_loadcnt 0x0
	v_mul_f32_e32 v2, v1, v2
.LBB21_15:
	v_mbcnt_lo_u32_b32 v1, -1, 0
	s_lshl_b64 s[0:1], s[0:1], 5
	s_wait_loadcnt 0x0
	s_delay_alu instid0(VALU_DEP_2)
	v_fmac_f32_e32 v2, s10, v3
	s_wait_kmcnt 0x0
	v_max_num_f32_e64 v3, s11, s11
	v_xor_b32_e32 v4, 16, v1
	v_xor_b32_e32 v8, 2, v1
	;; [unrolled: 1-line block ×3, first 2 shown]
	s_delay_alu instid0(VALU_DEP_4) | instskip(NEXT) | instid1(VALU_DEP_4)
	v_dual_max_num_f32 v3, v3, v2 :: v_dual_bitop2_b32 v9, 1, v1 bitop3:0x14
	v_cmp_gt_i32_e32 vcc_lo, 32, v4
	v_dual_cndmask_b32 v4, v1, v4, vcc_lo :: v_dual_bitop2_b32 v6, 8, v1 bitop3:0x14
	s_delay_alu instid0(VALU_DEP_1) | instskip(NEXT) | instid1(VALU_DEP_2)
	v_cmp_gt_i32_e32 vcc_lo, 32, v6
	v_lshlrev_b32_e32 v4, 2, v4
	ds_bpermute_b32 v5, v4, v3
	s_wait_dscnt 0x0
	v_max_num_f32_e32 v5, v5, v5
	v_cndmask_b32_e32 v6, v1, v6, vcc_lo
	v_cmp_gt_i32_e32 vcc_lo, 32, v7
	s_delay_alu instid0(VALU_DEP_2)
	v_dual_max_num_f32 v3, v3, v5 :: v_dual_lshlrev_b32 v6, 2, v6
	ds_bpermute_b32 v5, v6, v3
	s_wait_dscnt 0x0
	v_max_num_f32_e32 v5, v5, v5
	v_cndmask_b32_e32 v7, v1, v7, vcc_lo
	v_cmp_gt_i32_e32 vcc_lo, 32, v8
	s_delay_alu instid0(VALU_DEP_2) | instskip(SKIP_4) | instid1(VALU_DEP_1)
	v_dual_max_num_f32 v3, v3, v5 :: v_dual_lshlrev_b32 v7, 2, v7
	v_cndmask_b32_e32 v8, v1, v8, vcc_lo
	v_cmp_gt_i32_e32 vcc_lo, 32, v9
	ds_bpermute_b32 v5, v7, v3
	v_dual_cndmask_b32 v1, v1, v9 :: v_dual_lshlrev_b32 v8, 2, v8
	v_lshlrev_b32_e32 v9, 2, v1
	s_wait_dscnt 0x0
	v_max_num_f32_e32 v5, v5, v5
	s_delay_alu instid0(VALU_DEP_1) | instskip(SKIP_3) | instid1(VALU_DEP_1)
	v_max_num_f32_e32 v3, v3, v5
	ds_bpermute_b32 v5, v8, v3
	s_wait_dscnt 0x0
	v_max_num_f32_e32 v5, v5, v5
	v_max_num_f32_e32 v1, v3, v5
	ds_bpermute_b32 v3, v9, v1
	s_wait_dscnt 0x0
	v_max_num_f32_e32 v3, v3, v3
	s_delay_alu instid0(VALU_DEP_1) | instskip(NEXT) | instid1(VALU_DEP_1)
	v_max_num_f32_e32 v3, v1, v3
	v_sub_f32_e32 v1, v2, v3
	s_delay_alu instid0(VALU_DEP_1) | instskip(SKIP_1) | instid1(VALU_DEP_2)
	v_mul_f32_e32 v2, 0x3fb8aa3b, v1
	v_cmp_ngt_f32_e32 vcc_lo, 0xc2ce8ed0, v1
	v_fma_f32 v5, 0x3fb8aa3b, v1, -v2
	v_rndne_f32_e32 v10, v2
	s_delay_alu instid0(VALU_DEP_1) | instskip(NEXT) | instid1(VALU_DEP_1)
	v_dual_fmac_f32 v5, 0x32a5705f, v1 :: v_dual_sub_f32 v2, v2, v10
	v_add_f32_e32 v2, v2, v5
	v_cvt_i32_f32_e32 v5, v10
	s_delay_alu instid0(VALU_DEP_2) | instskip(SKIP_1) | instid1(TRANS32_DEP_1)
	v_exp_f32_e32 v2, v2
	v_nop
	v_ldexp_f32 v2, v2, v5
	v_lshl_add_u32 v5, v0, 2, 0
	s_delay_alu instid0(VALU_DEP_2) | instskip(SKIP_1) | instid1(VALU_DEP_2)
	v_cndmask_b32_e32 v2, 0, v2, vcc_lo
	v_cmp_nlt_f32_e32 vcc_lo, 0x42b17218, v1
	v_cndmask_b32_e32 v1, 0x7f800000, v2, vcc_lo
	s_and_not1_b32 vcc_lo, exec_lo, s3
	ds_bpermute_b32 v2, v4, v1
	s_wait_dscnt 0x0
	v_add_f32_e32 v2, v1, v2
	ds_bpermute_b32 v4, v6, v2
	s_wait_dscnt 0x0
	v_add_f32_e32 v2, v2, v4
	ds_store_b32 v5, v1 offset:128
	ds_bpermute_b32 v4, v7, v2
	s_wait_dscnt 0x0
	v_add_f32_e32 v2, v2, v4
	ds_bpermute_b32 v4, v8, v2
	s_wait_dscnt 0x0
	v_add_f32_e32 v2, v2, v4
	;; [unrolled: 3-line block ×3, first 2 shown]
	s_cbranch_vccnz .LBB21_17
; %bb.16:
	s_load_b32 s2, s[16:17], s2 offset:0x0 scale_offset
	s_wait_kmcnt 0x0
	v_sub_f32_e32 v3, s2, v3
	s_delay_alu instid0(VALU_DEP_1) | instskip(NEXT) | instid1(VALU_DEP_1)
	v_mul_f32_e32 v4, 0x3fb8aa3b, v3
	v_fma_f32 v5, 0x3fb8aa3b, v3, -v4
	v_rndne_f32_e32 v6, v4
	s_delay_alu instid0(VALU_DEP_1) | instskip(SKIP_1) | instid1(VALU_DEP_4)
	v_sub_f32_e32 v4, v4, v6
	v_cmp_ngt_f32_e32 vcc_lo, 0xc2ce8ed0, v3
	v_fmac_f32_e32 v5, 0x32a5705f, v3
	s_delay_alu instid0(VALU_DEP_1) | instskip(SKIP_1) | instid1(VALU_DEP_2)
	v_add_f32_e32 v4, v4, v5
	v_cvt_i32_f32_e32 v5, v6
	v_exp_f32_e32 v4, v4
	v_nop
	s_delay_alu instid0(TRANS32_DEP_1) | instskip(NEXT) | instid1(VALU_DEP_1)
	v_ldexp_f32 v4, v4, v5
	v_cndmask_b32_e32 v4, 0, v4, vcc_lo
	v_cmp_nlt_f32_e32 vcc_lo, 0x42b17218, v3
	s_delay_alu instid0(VALU_DEP_2) | instskip(NEXT) | instid1(VALU_DEP_1)
	v_cndmask_b32_e32 v3, 0x7f800000, v4, vcc_lo
	v_add_f32_e32 v2, v2, v3
.LBB21_17:
	s_delay_alu instid0(VALU_DEP_1) | instskip(SKIP_1) | instid1(SALU_CYCLE_1)
	v_div_scale_f32 v3, null, v2, v2, 1.0
	s_lshl_b64 s[0:1], s[0:1], 2
	s_add_nc_u64 s[0:1], s[18:19], s[0:1]
	v_rcp_f32_e32 v4, v3
	v_nop
	s_delay_alu instid0(TRANS32_DEP_1) | instskip(NEXT) | instid1(VALU_DEP_1)
	v_fma_f32 v5, -v3, v4, 1.0
	v_fmac_f32_e32 v4, v5, v4
	v_div_scale_f32 v5, vcc_lo, 1.0, v2, 1.0
	s_delay_alu instid0(VALU_DEP_1) | instskip(NEXT) | instid1(VALU_DEP_1)
	v_mul_f32_e32 v6, v5, v4
	v_fma_f32 v7, -v3, v6, v5
	s_delay_alu instid0(VALU_DEP_1) | instskip(NEXT) | instid1(VALU_DEP_1)
	v_fmac_f32_e32 v6, v7, v4
	v_fma_f32 v3, -v3, v6, v5
	s_delay_alu instid0(VALU_DEP_1) | instskip(NEXT) | instid1(VALU_DEP_1)
	v_div_fmas_f32 v3, v3, v4, v6
	v_div_fixup_f32 v2, v3, v2, 1.0
	s_delay_alu instid0(VALU_DEP_1)
	v_mul_f32_e32 v1, v2, v1
	global_store_b32 v0, v1, s[0:1] scale_offset
	s_endpgm
	.section	.rodata,"a",@progbits
	.p2align	6, 0x0
	.amdhsa_kernel _ZL12soft_max_f32ILb1ELi32ELi32EfEvPKfPKT2_S1_Pf15soft_max_params
		.amdhsa_group_segment_fixed_size 0
		.amdhsa_private_segment_fixed_size 0
		.amdhsa_kernarg_size 416
		.amdhsa_user_sgpr_count 2
		.amdhsa_user_sgpr_dispatch_ptr 0
		.amdhsa_user_sgpr_queue_ptr 0
		.amdhsa_user_sgpr_kernarg_segment_ptr 1
		.amdhsa_user_sgpr_dispatch_id 0
		.amdhsa_user_sgpr_kernarg_preload_length 0
		.amdhsa_user_sgpr_kernarg_preload_offset 0
		.amdhsa_user_sgpr_private_segment_size 0
		.amdhsa_wavefront_size32 1
		.amdhsa_uses_dynamic_stack 0
		.amdhsa_enable_private_segment 0
		.amdhsa_system_sgpr_workgroup_id_x 1
		.amdhsa_system_sgpr_workgroup_id_y 1
		.amdhsa_system_sgpr_workgroup_id_z 1
		.amdhsa_system_sgpr_workgroup_info 0
		.amdhsa_system_vgpr_workitem_id 0
		.amdhsa_next_free_vgpr 18
		.amdhsa_next_free_sgpr 36
		.amdhsa_named_barrier_count 0
		.amdhsa_reserve_vcc 1
		.amdhsa_float_round_mode_32 0
		.amdhsa_float_round_mode_16_64 0
		.amdhsa_float_denorm_mode_32 3
		.amdhsa_float_denorm_mode_16_64 3
		.amdhsa_fp16_overflow 0
		.amdhsa_memory_ordered 1
		.amdhsa_forward_progress 1
		.amdhsa_inst_pref_size 31
		.amdhsa_round_robin_scheduling 0
		.amdhsa_exception_fp_ieee_invalid_op 0
		.amdhsa_exception_fp_denorm_src 0
		.amdhsa_exception_fp_ieee_div_zero 0
		.amdhsa_exception_fp_ieee_overflow 0
		.amdhsa_exception_fp_ieee_underflow 0
		.amdhsa_exception_fp_ieee_inexact 0
		.amdhsa_exception_int_div_zero 0
	.end_amdhsa_kernel
	.section	.text._ZL12soft_max_f32ILb1ELi32ELi32EfEvPKfPKT2_S1_Pf15soft_max_params,"axG",@progbits,_ZL12soft_max_f32ILb1ELi32ELi32EfEvPKfPKT2_S1_Pf15soft_max_params,comdat
.Lfunc_end21:
	.size	_ZL12soft_max_f32ILb1ELi32ELi32EfEvPKfPKT2_S1_Pf15soft_max_params, .Lfunc_end21-_ZL12soft_max_f32ILb1ELi32ELi32EfEvPKfPKT2_S1_Pf15soft_max_params
                                        ; -- End function
	.set _ZL12soft_max_f32ILb1ELi32ELi32EfEvPKfPKT2_S1_Pf15soft_max_params.num_vgpr, 18
	.set _ZL12soft_max_f32ILb1ELi32ELi32EfEvPKfPKT2_S1_Pf15soft_max_params.num_agpr, 0
	.set _ZL12soft_max_f32ILb1ELi32ELi32EfEvPKfPKT2_S1_Pf15soft_max_params.numbered_sgpr, 36
	.set _ZL12soft_max_f32ILb1ELi32ELi32EfEvPKfPKT2_S1_Pf15soft_max_params.num_named_barrier, 0
	.set _ZL12soft_max_f32ILb1ELi32ELi32EfEvPKfPKT2_S1_Pf15soft_max_params.private_seg_size, 0
	.set _ZL12soft_max_f32ILb1ELi32ELi32EfEvPKfPKT2_S1_Pf15soft_max_params.uses_vcc, 1
	.set _ZL12soft_max_f32ILb1ELi32ELi32EfEvPKfPKT2_S1_Pf15soft_max_params.uses_flat_scratch, 0
	.set _ZL12soft_max_f32ILb1ELi32ELi32EfEvPKfPKT2_S1_Pf15soft_max_params.has_dyn_sized_stack, 0
	.set _ZL12soft_max_f32ILb1ELi32ELi32EfEvPKfPKT2_S1_Pf15soft_max_params.has_recursion, 0
	.set _ZL12soft_max_f32ILb1ELi32ELi32EfEvPKfPKT2_S1_Pf15soft_max_params.has_indirect_call, 0
	.section	.AMDGPU.csdata,"",@progbits
; Kernel info:
; codeLenInByte = 3952
; TotalNumSgprs: 38
; NumVgprs: 18
; ScratchSize: 0
; MemoryBound: 0
; FloatMode: 240
; IeeeMode: 1
; LDSByteSize: 0 bytes/workgroup (compile time only)
; SGPRBlocks: 0
; VGPRBlocks: 1
; NumSGPRsForWavesPerEU: 38
; NumVGPRsForWavesPerEU: 18
; NamedBarCnt: 0
; Occupancy: 16
; WaveLimiterHint : 1
; COMPUTE_PGM_RSRC2:SCRATCH_EN: 0
; COMPUTE_PGM_RSRC2:USER_SGPR: 2
; COMPUTE_PGM_RSRC2:TRAP_HANDLER: 0
; COMPUTE_PGM_RSRC2:TGID_X_EN: 1
; COMPUTE_PGM_RSRC2:TGID_Y_EN: 1
; COMPUTE_PGM_RSRC2:TGID_Z_EN: 1
; COMPUTE_PGM_RSRC2:TIDIG_COMP_CNT: 0
	.section	.text._ZL12soft_max_f32ILb1ELi0ELi0EfEvPKfPKT2_S1_Pf15soft_max_params,"axG",@progbits,_ZL12soft_max_f32ILb1ELi0ELi0EfEvPKfPKT2_S1_Pf15soft_max_params,comdat
	.globl	_ZL12soft_max_f32ILb1ELi0ELi0EfEvPKfPKT2_S1_Pf15soft_max_params ; -- Begin function _ZL12soft_max_f32ILb1ELi0ELi0EfEvPKfPKT2_S1_Pf15soft_max_params
	.p2align	8
	.type	_ZL12soft_max_f32ILb1ELi0ELi0EfEvPKfPKT2_S1_Pf15soft_max_params,@function
_ZL12soft_max_f32ILb1ELi0ELi0EfEvPKfPKT2_S1_Pf15soft_max_params: ; @_ZL12soft_max_f32ILb1ELi0ELi0EfEvPKfPKT2_S1_Pf15soft_max_params
; %bb.0:
	s_clause 0x1
	s_load_b256 s[4:11], s[0:1], 0x68
	s_load_b64 s[16:17], s[0:1], 0x88
	s_bfe_u32 s2, ttmp6, 0x40010
	s_and_b32 s3, ttmp7, 0xffff
	s_add_co_i32 s2, s2, 1
	s_bfe_u32 s12, ttmp6, 0x40004
	s_mul_i32 s2, s3, s2
	s_getreg_b32 s30, hwreg(HW_REG_IB_STS2, 6, 4)
	s_add_co_i32 s12, s12, s2
	s_cmp_eq_u32 s30, 0
	s_mov_b32 s29, 0
	s_cselect_b32 s28, s3, s12
	s_mov_b32 s32, 0
	s_wait_kmcnt 0x0
	s_and_b64 s[2:3], s[10:11], 0xffffffff00000000
	s_delay_alu instid0(SALU_CYCLE_1)
	s_cmp_lg_u64 s[2:3], 0
	s_cbranch_scc0 .LBB22_10
; %bb.1:
	s_ashr_i32 s2, s11, 31
	s_mov_b32 s19, s29
	s_mov_b32 s3, s2
	;; [unrolled: 1-line block ×3, first 2 shown]
	s_add_nc_u64 s[12:13], s[10:11], s[2:3]
	s_delay_alu instid0(SALU_CYCLE_1) | instskip(NEXT) | instid1(SALU_CYCLE_1)
	s_xor_b64 s[2:3], s[12:13], s[2:3]
	s_cvt_f32_u32 s11, s2
	s_cvt_f32_u32 s12, s3
	s_sub_nc_u64 s[14:15], 0, s[2:3]
	s_delay_alu instid0(SALU_CYCLE_2) | instskip(NEXT) | instid1(SALU_CYCLE_3)
	s_fmamk_f32 s11, s12, 0x4f800000, s11
	v_s_rcp_f32 s11, s11
	s_delay_alu instid0(TRANS32_DEP_1) | instskip(NEXT) | instid1(SALU_CYCLE_3)
	s_mul_f32 s11, s11, 0x5f7ffffc
	s_mul_f32 s12, s11, 0x2f800000
	s_delay_alu instid0(SALU_CYCLE_3) | instskip(NEXT) | instid1(SALU_CYCLE_3)
	s_trunc_f32 s12, s12
	s_fmamk_f32 s11, s12, 0xcf800000, s11
	s_cvt_u32_f32 s13, s12
	s_delay_alu instid0(SALU_CYCLE_2) | instskip(NEXT) | instid1(SALU_CYCLE_3)
	s_cvt_u32_f32 s12, s11
	s_mul_u64 s[20:21], s[14:15], s[12:13]
	s_delay_alu instid0(SALU_CYCLE_1)
	s_mul_hi_u32 s25, s12, s21
	s_mul_i32 s24, s12, s21
	s_mul_hi_u32 s18, s12, s20
	s_mul_i32 s22, s13, s20
	s_add_nc_u64 s[18:19], s[18:19], s[24:25]
	s_mul_hi_u32 s11, s13, s20
	s_mul_hi_u32 s26, s13, s21
	s_add_co_u32 s18, s18, s22
	s_add_co_ci_u32 s22, s19, s11
	s_mul_i32 s20, s13, s21
	s_add_co_ci_u32 s21, s26, 0
	s_delay_alu instid0(SALU_CYCLE_1) | instskip(SKIP_3) | instid1(SALU_CYCLE_1)
	s_add_nc_u64 s[18:19], s[22:23], s[20:21]
	s_mov_b32 s21, s29
	s_add_co_u32 s12, s12, s18
	s_cselect_b32 s11, -1, 0
	s_cmp_lg_u32 s11, 0
	s_add_co_ci_u32 s13, s13, s19
	s_mov_b32 s19, s29
	s_mul_u64 s[14:15], s[14:15], s[12:13]
	s_delay_alu instid0(SALU_CYCLE_1)
	s_mul_hi_u32 s23, s12, s15
	s_mul_i32 s22, s12, s15
	s_mul_hi_u32 s18, s12, s14
	s_mul_i32 s20, s13, s14
	s_add_nc_u64 s[18:19], s[18:19], s[22:23]
	s_mul_hi_u32 s11, s13, s14
	s_mul_hi_u32 s24, s13, s15
	s_mul_i32 s14, s13, s15
	s_add_co_u32 s15, s18, s20
	s_add_co_ci_u32 s20, s19, s11
	s_add_co_ci_u32 s15, s24, 0
	s_add_nc_u64 s[18:19], s[28:29], 0
	s_add_nc_u64 s[14:15], s[20:21], s[14:15]
	s_delay_alu instid0(SALU_CYCLE_1) | instskip(SKIP_1) | instid1(SALU_CYCLE_1)
	s_add_co_u32 s11, s12, s14
	s_cselect_b32 s12, -1, 0
	s_cmp_lg_u32 s12, 0
	s_add_co_ci_u32 s14, s13, s15
	s_xor_b64 s[12:13], s[18:19], 0
	s_mov_b32 s15, s29
	s_mul_hi_u32 s19, s12, s14
	s_mul_i32 s18, s12, s14
	s_mul_hi_u32 s20, s12, s11
	s_mul_hi_u32 s23, s13, s11
	s_mul_i32 s11, s13, s11
	s_add_nc_u64 s[18:19], s[20:21], s[18:19]
	s_mul_hi_u32 s22, s13, s14
	s_add_co_u32 s11, s18, s11
	s_mul_i32 s20, s13, s14
	s_add_co_ci_u32 s14, s19, s23
	s_add_co_ci_u32 s21, s22, 0
	s_delay_alu instid0(SALU_CYCLE_1) | instskip(NEXT) | instid1(SALU_CYCLE_1)
	s_add_nc_u64 s[14:15], s[14:15], s[20:21]
	s_and_b64 s[18:19], s[14:15], 0xffffffff00000000
	s_delay_alu instid0(SALU_CYCLE_1) | instskip(NEXT) | instid1(SALU_CYCLE_1)
	s_or_b32 s18, s18, s14
	s_mul_u64 s[14:15], s[2:3], s[18:19]
	s_delay_alu instid0(SALU_CYCLE_1)
	s_sub_co_u32 s11, s12, s14
	s_cselect_b32 s12, -1, 0
	s_sub_co_i32 s14, s13, s15
	s_cmp_lg_u32 s12, 0
	s_sub_co_ci_u32 s14, s14, s3
	s_sub_co_u32 s18, s11, s2
	s_cselect_b32 s19, -1, 0
	s_delay_alu instid0(SALU_CYCLE_1) | instskip(SKIP_1) | instid1(SALU_CYCLE_1)
	s_cmp_lg_u32 s19, 0
	s_sub_co_ci_u32 s20, s14, 0
	s_cmp_ge_u32 s20, s3
	s_cselect_b32 s21, -1, 0
	s_cmp_ge_u32 s18, s2
	s_cselect_b32 s22, -1, 0
	s_cmp_eq_u32 s20, s3
	s_cselect_b32 s21, s22, s21
	s_cmp_lg_u32 s19, 0
	s_sub_co_ci_u32 s14, s14, s3
	s_sub_co_u32 s19, s18, s2
	s_cselect_b32 s22, -1, 0
	s_delay_alu instid0(SALU_CYCLE_1)
	s_cmp_lg_u32 s22, 0
	s_sub_co_ci_u32 s14, s14, 0
	s_cmp_lg_u32 s21, 0
	s_cselect_b32 s18, s19, s18
	s_cselect_b32 s14, s14, s20
	s_cmp_lg_u32 s12, 0
	s_sub_co_ci_u32 s12, s13, s15
	s_delay_alu instid0(SALU_CYCLE_1)
	s_cmp_ge_u32 s12, s3
	s_cselect_b32 s13, -1, 0
	s_cmp_ge_u32 s11, s2
	s_cselect_b32 s2, -1, 0
	s_cmp_eq_u32 s12, s3
	s_cselect_b32 s2, s2, s13
	s_delay_alu instid0(SALU_CYCLE_1) | instskip(SKIP_2) | instid1(SALU_CYCLE_1)
	s_cmp_lg_u32 s2, 0
	s_cselect_b32 s3, s14, s12
	s_cselect_b32 s2, s18, s11
	s_xor_b64 s[2:3], s[2:3], 0
	s_delay_alu instid0(SALU_CYCLE_1)
	s_sub_nc_u64 s[12:13], s[2:3], 0
	s_and_not1_b32 vcc_lo, exec_lo, s29
	s_cbranch_vccnz .LBB22_3
.LBB22_2:
	v_cvt_f32_u32_e32 v1, s10
	s_sub_co_i32 s3, 0, s10
	s_mov_b32 s13, 0
	s_delay_alu instid0(VALU_DEP_1) | instskip(SKIP_1) | instid1(TRANS32_DEP_1)
	v_rcp_iflag_f32_e32 v1, v1
	v_nop
	v_mul_f32_e32 v1, 0x4f7ffffe, v1
	s_delay_alu instid0(VALU_DEP_1) | instskip(NEXT) | instid1(VALU_DEP_1)
	v_cvt_u32_f32_e32 v1, v1
	v_readfirstlane_b32 s2, v1
	s_mul_i32 s3, s3, s2
	s_delay_alu instid0(SALU_CYCLE_1) | instskip(NEXT) | instid1(SALU_CYCLE_1)
	s_mul_hi_u32 s3, s2, s3
	s_add_co_i32 s2, s2, s3
	s_delay_alu instid0(SALU_CYCLE_1) | instskip(NEXT) | instid1(SALU_CYCLE_1)
	s_mul_hi_u32 s2, s28, s2
	s_mul_i32 s2, s2, s10
	s_delay_alu instid0(SALU_CYCLE_1) | instskip(NEXT) | instid1(SALU_CYCLE_1)
	s_sub_co_i32 s2, s28, s2
	s_sub_co_i32 s3, s2, s10
	s_cmp_ge_u32 s2, s10
	s_cselect_b32 s2, s3, s2
	s_delay_alu instid0(SALU_CYCLE_1)
	s_sub_co_i32 s3, s2, s10
	s_cmp_ge_u32 s2, s10
	s_cselect_b32 s12, s3, s2
.LBB22_3:
	s_load_b64 s[2:3], s[0:1], 0x90
	s_bfe_u32 s10, ttmp6, 0x40014
	s_lshr_b32 s11, ttmp7, 16
	s_add_co_i32 s10, s10, 1
	s_bfe_u32 s14, ttmp6, 0x40008
	s_mul_i32 s10, s11, s10
	s_delay_alu instid0(SALU_CYCLE_1)
	s_add_co_i32 s14, s14, s10
	s_cmp_eq_u32 s30, 0
	s_cselect_b32 s10, s11, s14
	s_and_b64 s[14:15], s[16:17], 0xffffffff00000000
	s_mov_b32 s11, 0
	s_cmp_lg_u64 s[14:15], 0
	s_cbranch_scc0 .LBB22_11
; %bb.4:
	s_ashr_i32 s14, s17, 31
	s_mov_b32 s23, s11
	s_mov_b32 s15, s14
	;; [unrolled: 1-line block ×3, first 2 shown]
	s_add_nc_u64 s[18:19], s[16:17], s[14:15]
	s_delay_alu instid0(SALU_CYCLE_1) | instskip(NEXT) | instid1(SALU_CYCLE_1)
	s_xor_b64 s[14:15], s[18:19], s[14:15]
	s_cvt_f32_u32 s17, s14
	s_cvt_f32_u32 s18, s15
	s_sub_nc_u64 s[20:21], 0, s[14:15]
	s_delay_alu instid0(SALU_CYCLE_2) | instskip(NEXT) | instid1(SALU_CYCLE_3)
	s_fmamk_f32 s17, s18, 0x4f800000, s17
	v_s_rcp_f32 s17, s17
	s_delay_alu instid0(TRANS32_DEP_1) | instskip(NEXT) | instid1(SALU_CYCLE_3)
	s_mul_f32 s17, s17, 0x5f7ffffc
	s_mul_f32 s18, s17, 0x2f800000
	s_delay_alu instid0(SALU_CYCLE_3) | instskip(NEXT) | instid1(SALU_CYCLE_3)
	s_trunc_f32 s18, s18
	s_fmamk_f32 s17, s18, 0xcf800000, s17
	s_cvt_u32_f32 s19, s18
	s_delay_alu instid0(SALU_CYCLE_2) | instskip(NEXT) | instid1(SALU_CYCLE_3)
	s_cvt_u32_f32 s18, s17
	s_mul_u64 s[24:25], s[20:21], s[18:19]
	s_delay_alu instid0(SALU_CYCLE_1)
	s_mul_hi_u32 s35, s18, s25
	s_mul_i32 s34, s18, s25
	s_mul_hi_u32 s22, s18, s24
	s_mul_i32 s26, s19, s24
	s_add_nc_u64 s[22:23], s[22:23], s[34:35]
	s_mul_hi_u32 s17, s19, s24
	s_mul_hi_u32 s29, s19, s25
	s_add_co_u32 s22, s22, s26
	s_add_co_ci_u32 s26, s23, s17
	s_mul_i32 s24, s19, s25
	s_add_co_ci_u32 s25, s29, 0
	s_delay_alu instid0(SALU_CYCLE_1) | instskip(SKIP_3) | instid1(SALU_CYCLE_1)
	s_add_nc_u64 s[22:23], s[26:27], s[24:25]
	s_mov_b32 s25, s11
	s_add_co_u32 s18, s18, s22
	s_cselect_b32 s17, -1, 0
	s_cmp_lg_u32 s17, 0
	s_add_co_ci_u32 s19, s19, s23
	s_mov_b32 s23, s11
	s_mul_u64 s[20:21], s[20:21], s[18:19]
	s_delay_alu instid0(SALU_CYCLE_1)
	s_mul_hi_u32 s27, s18, s21
	s_mul_i32 s26, s18, s21
	s_mul_hi_u32 s22, s18, s20
	s_mul_i32 s24, s19, s20
	s_add_nc_u64 s[22:23], s[22:23], s[26:27]
	s_mul_hi_u32 s17, s19, s20
	s_mul_hi_u32 s29, s19, s21
	s_mul_i32 s20, s19, s21
	s_add_co_u32 s21, s22, s24
	s_add_co_ci_u32 s24, s23, s17
	s_add_co_ci_u32 s21, s29, 0
	s_add_nc_u64 s[22:23], s[10:11], 0
	s_add_nc_u64 s[20:21], s[24:25], s[20:21]
	s_delay_alu instid0(SALU_CYCLE_1) | instskip(SKIP_1) | instid1(SALU_CYCLE_1)
	s_add_co_u32 s17, s18, s20
	s_cselect_b32 s18, -1, 0
	s_cmp_lg_u32 s18, 0
	s_add_co_ci_u32 s20, s19, s21
	s_xor_b64 s[18:19], s[22:23], 0
	s_mov_b32 s21, s11
	s_mul_hi_u32 s23, s18, s20
	s_mul_i32 s22, s18, s20
	s_mul_hi_u32 s24, s18, s17
	s_mul_hi_u32 s27, s19, s17
	s_mul_i32 s17, s19, s17
	s_add_nc_u64 s[22:23], s[24:25], s[22:23]
	s_mul_hi_u32 s26, s19, s20
	s_add_co_u32 s17, s22, s17
	s_mul_i32 s24, s19, s20
	s_add_co_ci_u32 s20, s23, s27
	s_add_co_ci_u32 s25, s26, 0
	s_delay_alu instid0(SALU_CYCLE_1) | instskip(NEXT) | instid1(SALU_CYCLE_1)
	s_add_nc_u64 s[20:21], s[20:21], s[24:25]
	s_and_b64 s[22:23], s[20:21], 0xffffffff00000000
	s_delay_alu instid0(SALU_CYCLE_1) | instskip(NEXT) | instid1(SALU_CYCLE_1)
	s_or_b32 s22, s22, s20
	s_mul_u64 s[20:21], s[14:15], s[22:23]
	s_delay_alu instid0(SALU_CYCLE_1)
	s_sub_co_u32 s17, s18, s20
	s_cselect_b32 s18, -1, 0
	s_sub_co_i32 s20, s19, s21
	s_cmp_lg_u32 s18, 0
	s_sub_co_ci_u32 s20, s20, s15
	s_sub_co_u32 s22, s17, s14
	s_cselect_b32 s23, -1, 0
	s_delay_alu instid0(SALU_CYCLE_1) | instskip(SKIP_1) | instid1(SALU_CYCLE_1)
	s_cmp_lg_u32 s23, 0
	s_sub_co_ci_u32 s24, s20, 0
	s_cmp_ge_u32 s24, s15
	s_cselect_b32 s25, -1, 0
	s_cmp_ge_u32 s22, s14
	s_cselect_b32 s26, -1, 0
	s_cmp_eq_u32 s24, s15
	s_cselect_b32 s25, s26, s25
	s_cmp_lg_u32 s23, 0
	s_sub_co_ci_u32 s20, s20, s15
	s_sub_co_u32 s23, s22, s14
	s_cselect_b32 s26, -1, 0
	s_delay_alu instid0(SALU_CYCLE_1)
	s_cmp_lg_u32 s26, 0
	s_sub_co_ci_u32 s20, s20, 0
	s_cmp_lg_u32 s25, 0
	s_cselect_b32 s22, s23, s22
	s_cselect_b32 s20, s20, s24
	s_cmp_lg_u32 s18, 0
	s_sub_co_ci_u32 s18, s19, s21
	s_delay_alu instid0(SALU_CYCLE_1)
	s_cmp_ge_u32 s18, s15
	s_cselect_b32 s19, -1, 0
	s_cmp_ge_u32 s17, s14
	s_cselect_b32 s14, -1, 0
	s_cmp_eq_u32 s18, s15
	s_cselect_b32 s14, s14, s19
	s_delay_alu instid0(SALU_CYCLE_1) | instskip(SKIP_2) | instid1(SALU_CYCLE_1)
	s_cmp_lg_u32 s14, 0
	s_cselect_b32 s15, s20, s18
	s_cselect_b32 s14, s22, s17
	s_xor_b64 s[14:15], s[14:15], 0
	s_delay_alu instid0(SALU_CYCLE_1)
	s_sub_nc_u64 s[14:15], s[14:15], 0
	s_and_not1_b32 vcc_lo, exec_lo, s11
	s_cbranch_vccnz .LBB22_6
.LBB22_5:
	v_cvt_f32_u32_e32 v1, s16
	s_sub_co_i32 s14, 0, s16
	s_mov_b32 s15, 0
	s_delay_alu instid0(VALU_DEP_1) | instskip(SKIP_1) | instid1(TRANS32_DEP_1)
	v_rcp_iflag_f32_e32 v1, v1
	v_nop
	v_mul_f32_e32 v1, 0x4f7ffffe, v1
	s_delay_alu instid0(VALU_DEP_1) | instskip(NEXT) | instid1(VALU_DEP_1)
	v_cvt_u32_f32_e32 v1, v1
	v_readfirstlane_b32 s11, v1
	s_mul_i32 s14, s14, s11
	s_delay_alu instid0(SALU_CYCLE_1) | instskip(NEXT) | instid1(SALU_CYCLE_1)
	s_mul_hi_u32 s14, s11, s14
	s_add_co_i32 s11, s11, s14
	s_delay_alu instid0(SALU_CYCLE_1) | instskip(NEXT) | instid1(SALU_CYCLE_1)
	s_mul_hi_u32 s11, s10, s11
	s_mul_i32 s11, s11, s16
	s_delay_alu instid0(SALU_CYCLE_1) | instskip(NEXT) | instid1(SALU_CYCLE_1)
	s_sub_co_i32 s11, s10, s11
	s_sub_co_i32 s14, s11, s16
	s_cmp_ge_u32 s11, s16
	s_cselect_b32 s11, s14, s11
	s_delay_alu instid0(SALU_CYCLE_1)
	s_sub_co_i32 s14, s11, s16
	s_cmp_ge_u32 s11, s16
	s_cselect_b32 s14, s14, s11
.LBB22_6:
	s_clause 0x1
	s_load_b64 s[34:35], s[0:1], 0x30
	s_load_b64 s[16:17], s[0:1], 0xa0
	v_mov_b32_e32 v1, 1.0
	s_wait_kmcnt 0x0
	s_cmp_le_f32 s3, 0
	s_add_nc_u64 s[18:19], s[0:1], 0xa0
	s_cbranch_scc1 .LBB22_8
; %bb.7:
	s_clause 0x1
	s_load_b32 s3, s[0:1], 0x28
	s_load_b64 s[20:21], s[0:1], 0x98
	s_add_co_i32 s22, s28, 1
	s_wait_kmcnt 0x0
	s_sub_co_i32 s11, s28, s3
	s_delay_alu instid0(SALU_CYCLE_1) | instskip(NEXT) | instid1(SALU_CYCLE_1)
	s_lshl_b32 s11, s11, 1
	s_or_b32 s11, s11, 1
	s_cmp_lt_u32 s28, s3
	s_cselect_b32 s3, s22, s11
	s_cselect_b32 s20, s20, s21
	s_cvt_f32_i32 s3, s3
	s_cmp_neq_f32 s20, 1.0
	s_delay_alu instid0(SALU_CYCLE_2) | instskip(NEXT) | instid1(SALU_CYCLE_1)
	s_cselect_b32 s11, s3, 1.0
	s_cmp_neq_f32 s11, 0
	s_cselect_b32 s3, s20, 1.0
	s_delay_alu instid0(SALU_CYCLE_1) | instskip(NEXT) | instid1(VALU_DEP_1)
	v_cvt_f64_f32_e64 v[2:3], |s3|
	v_frexp_exp_i32_f64_e32 v1, v[2:3]
	v_frexp_mant_f32_e64 v2, |s3|
	s_delay_alu instid0(VALU_DEP_1) | instskip(SKIP_2) | instid1(SALU_CYCLE_1)
	v_readfirstlane_b32 s20, v2
	s_cmp_lt_f32 s20, 0x3f2aaaab
	s_cselect_b32 vcc_lo, -1, 0
	s_and_b32 s21, vcc_lo, exec_lo
	s_cselect_b32 s21, 2.0, 1.0
	s_delay_alu instid0(SALU_CYCLE_1) | instskip(NEXT) | instid1(SALU_CYCLE_3)
	s_mul_f32 s20, s20, s21
	s_add_f32 s21, s20, 1.0
	s_add_f32 s23, s20, -1.0
	s_delay_alu instid0(SALU_CYCLE_2) | instskip(SKIP_2) | instid1(SALU_CYCLE_2)
	v_s_rcp_f32 s22, s21
	s_add_f32 s26, s21, -1.0
	v_subrev_co_ci_u32_e64 v1, null, 0, v1, vcc_lo
	s_sub_f32 s20, s20, s26
	s_delay_alu instid0(TRANS32_DEP_1) | instskip(SKIP_1) | instid1(SALU_CYCLE_2)
	s_mul_f32 s24, s23, s22
	v_cvt_f32_i32_e32 v1, v1
	s_mul_f32 s25, s21, s24
	s_delay_alu instid0(SALU_CYCLE_3) | instskip(SKIP_1) | instid1(SALU_CYCLE_1)
	v_dual_mov_b32 v3, s23 :: v_dual_mov_b32 v4, s25
	s_xor_b32 s27, s25, 0x80000000
	s_fmac_f32 s27, s24, s21
	s_delay_alu instid0(SALU_CYCLE_3) | instskip(NEXT) | instid1(SALU_CYCLE_3)
	s_fmac_f32 s27, s24, s20
	s_add_f32 s20, s25, s27
	v_mov_b32_e32 v6, s27
	s_mov_b32 s25, 0x3e76c4e1
	s_delay_alu instid0(SALU_CYCLE_1) | instskip(SKIP_1) | instid1(SALU_CYCLE_2)
	s_sub_f32 s21, s23, s20
	v_dual_mov_b32 v2, s20 :: v_dual_mov_b32 v7, s20
	v_mov_b32_e32 v5, s21
	s_delay_alu instid0(VALU_DEP_1) | instskip(NEXT) | instid1(VALU_DEP_1)
	v_pk_add_f32 v[2:3], v[2:3], v[4:5] neg_lo:[0,1] neg_hi:[0,1]
	v_pk_add_f32 v[2:3], v[2:3], v[6:7] neg_lo:[0,1] neg_hi:[0,1]
	s_delay_alu instid0(VALU_DEP_1) | instskip(NEXT) | instid1(VALU_DEP_2)
	v_readfirstlane_b32 s20, v3
	v_readfirstlane_b32 s23, v2
	s_add_f32 s20, s23, s20
	s_delay_alu instid0(SALU_CYCLE_3) | instskip(NEXT) | instid1(SALU_CYCLE_3)
	s_add_f32 s20, s21, s20
	s_mul_f32 s21, s22, s20
	s_delay_alu instid0(SALU_CYCLE_3) | instskip(NEXT) | instid1(SALU_CYCLE_3)
	s_add_f32 s20, s24, s21
	s_sub_f32 s22, s20, s24
	s_mul_f32 s23, s20, s20
	s_delay_alu instid0(SALU_CYCLE_2) | instskip(NEXT) | instid1(SALU_CYCLE_2)
	s_sub_f32 s24, s21, s22
	s_xor_b32 s21, s23, 0x80000000
	s_delay_alu instid0(SALU_CYCLE_1) | instskip(NEXT) | instid1(SALU_CYCLE_1)
	s_fmac_f32 s21, s20, s20
	s_add_f32 s22, s24, s24
	s_delay_alu instid0(SALU_CYCLE_3) | instskip(NEXT) | instid1(SALU_CYCLE_3)
	s_fmac_f32 s21, s20, s22
	s_add_f32 s22, s23, s21
	s_delay_alu instid0(SALU_CYCLE_3) | instskip(SKIP_1) | instid1(SALU_CYCLE_2)
	s_fmaak_f32 s25, s22, s25, 0x3e91f4c4
	s_sub_f32 s23, s22, s23
	s_fmaak_f32 s25, s22, s25, 0x3ecccdef
	s_delay_alu instid0(SALU_CYCLE_2) | instskip(NEXT) | instid1(SALU_CYCLE_2)
	s_sub_f32 s29, s21, s23
	s_mul_f32 s26, s22, s25
	s_delay_alu instid0(SALU_CYCLE_3) | instskip(NEXT) | instid1(SALU_CYCLE_1)
	s_xor_b32 s27, s26, 0x80000000
	s_fmac_f32 s27, s22, s25
	s_delay_alu instid0(SALU_CYCLE_3) | instskip(NEXT) | instid1(SALU_CYCLE_3)
	s_fmac_f32 s27, s29, s25
	s_add_f32 s23, s26, s27
	s_delay_alu instid0(SALU_CYCLE_3) | instskip(SKIP_1) | instid1(SALU_CYCLE_2)
	s_sub_f32 s21, s23, s26
	s_add_f32 s25, s23, 0x3f2aaaaa
	s_sub_f32 s21, s27, s21
	s_delay_alu instid0(SALU_CYCLE_2) | instskip(NEXT) | instid1(SALU_CYCLE_2)
	s_add_f32 s26, s25, 0xbf2aaaaa
	s_add_f32 s21, s21, 0x31739010
	s_delay_alu instid0(SALU_CYCLE_2) | instskip(NEXT) | instid1(SALU_CYCLE_2)
	s_sub_f32 s23, s23, s26
	v_mov_b64_e32 v[2:3], s[20:21]
	s_delay_alu instid0(SALU_CYCLE_2) | instskip(NEXT) | instid1(VALU_DEP_1)
	v_mov_b64_e32 v[4:5], s[22:23]
	v_pk_mul_f32 v[6:7], v[2:3], v[4:5]
	v_pk_add_f32 v[2:3], v[2:3], v[4:5]
	v_mov_b32_e32 v9, s25
	s_delay_alu instid0(VALU_DEP_3) | instskip(NEXT) | instid1(VALU_DEP_3)
	v_xor_b32_e32 v8, 0x80000000, v6
	v_mov_b32_e32 v7, v3
	s_delay_alu instid0(VALU_DEP_2) | instskip(NEXT) | instid1(VALU_DEP_1)
	v_fmac_f32_e64 v8, s22, s20
	v_fmac_f32_e64 v8, s22, s24
	s_delay_alu instid0(VALU_DEP_1) | instskip(NEXT) | instid1(VALU_DEP_1)
	v_fmac_f32_e64 v8, s29, s20
	v_pk_add_f32 v[4:5], v[6:7], v[8:9]
	s_delay_alu instid0(VALU_DEP_1) | instskip(SKIP_1) | instid1(VALU_DEP_2)
	v_dual_mov_b32 v2, v5 :: v_dual_sub_f32 v7, s25, v5
	v_mul_f32_e32 v12, 0x3f317218, v1
	v_pk_mul_f32 v[10:11], v[4:5], v[2:3]
	s_delay_alu instid0(VALU_DEP_3) | instskip(NEXT) | instid1(VALU_DEP_3)
	v_add_f32_e32 v3, v3, v7
	v_xor_b32_e32 v7, 0x80000000, v12
	s_delay_alu instid0(VALU_DEP_3) | instskip(NEXT) | instid1(VALU_DEP_2)
	v_xor_b32_e32 v2, 0x80000000, v10
	v_dual_sub_f32 v6, v4, v6 :: v_dual_fmac_f32 v7, 0x3f317218, v1
	s_delay_alu instid0(VALU_DEP_2) | instskip(NEXT) | instid1(VALU_DEP_2)
	v_fmac_f32_e32 v2, v4, v5
	v_sub_f32_e32 v6, v8, v6
	s_delay_alu instid0(VALU_DEP_2) | instskip(NEXT) | instid1(VALU_DEP_1)
	v_fmac_f32_e32 v2, v4, v3
	v_fmac_f32_e32 v2, v6, v5
	v_fmamk_f32 v4, v1, 0xb102e308, v7
	v_ldexp_f32 v5, s20, 1
	v_ldexp_f32 v1, s24, 1
	s_delay_alu instid0(VALU_DEP_2) | instskip(NEXT) | instid1(VALU_DEP_1)
	v_dual_add_f32 v13, v10, v2 :: v_dual_mov_b32 v11, v5
	v_pk_add_f32 v[6:7], v[12:13], v[4:5]
	v_dual_mov_b32 v8, v13 :: v_dual_mov_b32 v3, v13
	s_delay_alu instid0(VALU_DEP_2) | instskip(SKIP_1) | instid1(VALU_DEP_2)
	v_dual_mov_b32 v9, v7 :: v_dual_mov_b32 v5, v6
	v_mov_b32_e32 v14, v7
	v_pk_add_f32 v[8:9], v[8:9], v[10:11] neg_lo:[0,1] neg_hi:[0,1]
	s_delay_alu instid0(VALU_DEP_1) | instskip(NEXT) | instid1(VALU_DEP_1)
	v_pk_add_f32 v[2:3], v[2:3], v[8:9] neg_lo:[0,1] neg_hi:[0,1]
	v_add_f32_e32 v1, v1, v2
	s_delay_alu instid0(VALU_DEP_1) | instskip(NEXT) | instid1(VALU_DEP_1)
	v_add_f32_e32 v13, v1, v3
	v_pk_add_f32 v[2:3], v[6:7], v[12:13]
	v_pk_add_f32 v[8:9], v[6:7], v[12:13] neg_lo:[0,1] neg_hi:[0,1]
	s_delay_alu instid0(VALU_DEP_2) | instskip(NEXT) | instid1(VALU_DEP_1)
	v_mov_b32_e32 v9, v3
	v_pk_add_f32 v[10:11], v[4:5], v[8:9]
	v_pk_add_f32 v[4:5], v[4:5], v[8:9] neg_lo:[0,1] neg_hi:[0,1]
	v_dual_mov_b32 v16, v3 :: v_dual_mov_b32 v5, v6
	s_delay_alu instid0(VALU_DEP_3) | instskip(NEXT) | instid1(VALU_DEP_3)
	v_dual_mov_b32 v12, v11 :: v_dual_mov_b32 v17, v11
	v_readfirstlane_b32 s20, v4
	s_delay_alu instid0(VALU_DEP_2) | instskip(NEXT) | instid1(VALU_DEP_2)
	v_pk_add_f32 v[8:9], v[12:13], v[6:7] neg_lo:[0,1] neg_hi:[0,1]
	v_dual_mov_b32 v4, v13 :: v_dual_mov_b32 v10, s20
	s_delay_alu instid0(VALU_DEP_2) | instskip(NEXT) | instid1(VALU_DEP_1)
	v_dual_mov_b32 v15, v8 :: v_dual_mov_b32 v1, v8
	v_pk_add_f32 v[6:7], v[16:17], v[14:15] neg_lo:[0,1] neg_hi:[0,1]
	s_delay_alu instid0(VALU_DEP_2) | instskip(SKIP_1) | instid1(VALU_DEP_3)
	v_pk_add_f32 v[2:3], v[2:3], v[0:1] neg_lo:[0,1] neg_hi:[0,1]
	v_mov_b32_e32 v2, s20
	v_pk_add_f32 v[4:5], v[4:5], v[6:7] neg_lo:[0,1] neg_hi:[0,1]
	s_delay_alu instid0(VALU_DEP_1) | instskip(NEXT) | instid1(VALU_DEP_1)
	v_pk_add_f32 v[2:3], v[2:3], v[4:5]
	v_readfirstlane_b32 s21, v2
	s_delay_alu instid0(VALU_DEP_2) | instskip(NEXT) | instid1(VALU_DEP_1)
	v_mov_b32_e32 v6, v3
	v_pk_add_f32 v[6:7], v[2:3], v[6:7]
	s_delay_alu instid0(VALU_DEP_3) | instskip(NEXT) | instid1(VALU_DEP_2)
	v_mov_b32_e32 v2, s21
	v_pk_add_f32 v[8:9], v[12:13], v[6:7]
	v_mov_b32_e32 v5, v6
	s_delay_alu instid0(VALU_DEP_2) | instskip(NEXT) | instid1(VALU_DEP_1)
	v_readfirstlane_b32 s22, v8
	v_mov_b32_e32 v3, s22
	s_delay_alu instid0(VALU_DEP_1) | instskip(NEXT) | instid1(VALU_DEP_1)
	v_pk_add_f32 v[2:3], v[2:3], v[10:11] neg_lo:[0,1] neg_hi:[0,1]
	v_readfirstlane_b32 s23, v2
	s_delay_alu instid0(VALU_DEP_2) | instskip(SKIP_1) | instid1(VALU_DEP_1)
	v_pk_add_f32 v[2:3], v[4:5], v[2:3] neg_lo:[0,1] neg_hi:[0,1]
	s_sub_f32 s21, s21, s23
	v_readfirstlane_b32 s23, v2
	s_delay_alu instid0(SALU_CYCLE_2) | instskip(SKIP_1) | instid1(SALU_CYCLE_2)
	s_sub_f32 s20, s20, s21
	v_readfirstlane_b32 s21, v3
	s_add_f32 s20, s23, s20
	s_delay_alu instid0(SALU_CYCLE_3) | instskip(NEXT) | instid1(SALU_CYCLE_3)
	s_add_f32 s20, s20, s21
	s_add_f32 s21, s22, s20
	s_delay_alu instid0(SALU_CYCLE_3) | instskip(SKIP_1) | instid1(SALU_CYCLE_2)
	s_mul_f32 s23, s11, s21
	s_sub_f32 s22, s21, s22
	s_xor_b32 s24, s23, 0x80000000
	s_delay_alu instid0(SALU_CYCLE_2) | instskip(SKIP_1) | instid1(SALU_CYCLE_3)
	s_sub_f32 s20, s20, s22
	s_fmac_f32 s24, s11, s21
	s_fmac_f32 s24, s11, s20
	v_cmp_class_f32_e64 s20, s23, 0x204
	s_delay_alu instid0(SALU_CYCLE_2) | instskip(SKIP_1) | instid1(SALU_CYCLE_2)
	s_add_f32 s21, s23, s24
	s_and_b32 s20, s20, exec_lo
	s_sub_f32 s20, s21, s23
	s_cselect_b32 s21, s23, s21
	s_delay_alu instid0(SALU_CYCLE_1) | instskip(NEXT) | instid1(SALU_CYCLE_1)
	s_and_b32 s22, s21, 0x7fffffff
	s_sub_f32 s20, s24, s20
	s_cmp_neq_f32 s22, 0x7f800000
	s_delay_alu instid0(SALU_CYCLE_2) | instskip(SKIP_2) | instid1(SALU_CYCLE_1)
	s_cselect_b32 s20, s20, 0
	s_cmp_eq_f32 s21, 0x42b17218
	s_cselect_b32 s22, 0x37000000, 0
	s_sub_f32 s21, s21, s22
	s_add_f32 s20, s22, s20
	s_delay_alu instid0(SALU_CYCLE_2) | instskip(NEXT) | instid1(SALU_CYCLE_3)
	s_mul_f32 s23, s21, 0x3fb8aa3b
	s_xor_b32 s24, s23, 0x80000000
	s_rndne_f32 s25, s23
	s_fmamk_f32 s24, s21, 0x3fb8aa3b, s24
	s_cmp_nlt_f32 s21, 0xc2ce8ed0
	s_delay_alu instid0(SALU_CYCLE_1) | instskip(NEXT) | instid1(SALU_CYCLE_1)
	s_sub_f32 s23, s23, s25
	s_fmamk_f32 s24, s21, 0x32a5705f, s24
	s_cselect_b32 vcc_lo, -1, 0
	s_cmp_ngt_f32 s21, 0x42b17218
	s_trunc_f32 s21, s11
	s_add_f32 s23, s23, s24
	s_cvt_i32_f32 s24, s25
	s_delay_alu instid0(SALU_CYCLE_2)
	v_s_exp_f32 s23, s23
	v_nop
	s_delay_alu instid0(TRANS32_DEP_1) | instid1(SALU_CYCLE_1)
	v_ldexp_f32 v1, s23, s24
	s_mul_f32 s23, s11, 0.5
	s_delay_alu instid0(VALU_DEP_1) | instskip(SKIP_3) | instid1(VALU_DEP_1)
	v_cndmask_b32_e32 v1, 0, v1, vcc_lo
	s_cselect_b32 vcc_lo, -1, 0
	s_cmp_eq_f32 s21, s11
	s_trunc_f32 s24, s23
	v_cndmask_b32_e32 v1, 0x7f800000, v1, vcc_lo
	s_cselect_b32 s25, -1, 0
	s_delay_alu instid0(SALU_CYCLE_1) | instskip(NEXT) | instid1(VALU_DEP_1)
	s_cmp_neq_f32 s24, s23
	v_fma_f32 v2, s20, v1, v1
	v_cmp_class_f32_e64 vcc_lo, v1, 0x204
	s_cselect_b32 s22, -1, 0
	s_delay_alu instid0(SALU_CYCLE_1)
	s_and_b32 s20, s25, s22
	v_cndmask_b32_e32 v1, v2, v1, vcc_lo
	s_and_b32 s22, s20, exec_lo
	s_cselect_b32 s22, s3, 1.0
	s_cmp_eq_f32 s21, s11
	v_cmp_class_f32_e64 s21, s3, 0x204
	v_bfi_b32 v1, 0x7fffffff, v1, s22
	s_cselect_b32 vcc_lo, -1, 0
	s_cmp_lt_f32 s3, 0
	s_delay_alu instid0(VALU_DEP_1) | instskip(SKIP_2) | instid1(VALU_DEP_1)
	v_cndmask_b32_e32 v2, 0x7fc00000, v1, vcc_lo
	s_cselect_b32 vcc_lo, -1, 0
	s_cmp_eq_f32 s3, 0
	v_cndmask_b32_e32 v1, v1, v2, vcc_lo
	s_cselect_b32 s22, -1, 0
	s_delay_alu instid0(SALU_CYCLE_1) | instskip(SKIP_2) | instid1(SALU_CYCLE_1)
	s_or_b32 vcc_lo, s22, s21
	s_cmp_lt_f32 s11, 0
	s_cselect_b32 s11, -1, 0
	s_xor_b32 s11, s11, s22
	s_delay_alu instid0(SALU_CYCLE_1)
	s_and_b32 s11, s11, exec_lo
	s_cselect_b32 s11, 0, 0x7f800000
	s_and_b32 s20, s20, exec_lo
	s_cselect_b32 s20, s3, 0
	s_cmp_o_f32 s3, s3
	v_mov_b32_e32 v2, s20
	s_delay_alu instid0(VALU_DEP_1) | instskip(NEXT) | instid1(VALU_DEP_1)
	v_bfi_b32 v2, 0x7fffffff, s11, v2
	v_cndmask_b32_e32 v1, v1, v2, vcc_lo
	s_cselect_b32 vcc_lo, -1, 0
	s_delay_alu instid0(VALU_DEP_1)
	v_cndmask_b32_e32 v1, 0x7fc00000, v1, vcc_lo
.LBB22_8:
	s_load_b256 s[20:27], s[0:1], 0x0
	s_load_b32 s3, s[18:19], 0xc
	s_wait_kmcnt 0x0
	s_cmp_lg_u64 s[24:25], 0
	s_cselect_b32 s29, -1, 0
	s_cmp_eq_u64 s[24:25], 0
	s_cbranch_scc1 .LBB22_12
; %bb.9:
	s_load_b32 s0, s[24:25], s28 offset:0x0 scale_offset
	s_branch .LBB22_13
.LBB22_10:
                                        ; implicit-def: $sgpr12_sgpr13
	s_branch .LBB22_2
.LBB22_11:
                                        ; implicit-def: $sgpr14_sgpr15
	s_branch .LBB22_5
.LBB22_12:
	s_mov_b32 s0, 0xff800000
.LBB22_13:
	s_bfe_u32 s1, ttmp6, 0x4000c
	s_and_b32 s11, ttmp6, 15
	s_add_co_i32 s1, s1, 1
	s_wait_kmcnt 0x0
	v_mov_b32_e32 v4, s0
	s_mul_i32 s1, ttmp9, s1
	s_delay_alu instid0(SALU_CYCLE_1)
	s_add_co_i32 s11, s11, s1
	s_cmp_eq_u32 s30, 0
	s_mul_i32 s1, s17, s10
	s_cselect_b32 s10, ttmp9, s11
	s_add_co_i32 s1, s1, s28
	s_bfe_i64 s[36:37], s[34:35], 0x200000
	s_mul_i32 s1, s1, s16
	s_and_b32 s17, 0xffff, s3
	s_add_co_i32 s38, s1, s10
	s_mov_b32 s11, 0
	s_ashr_i32 s39, s38, 31
	s_cmp_gt_i32 s34, 0
	s_cselect_b32 s35, -1, 0
	s_cmp_lt_i32 s34, 1
	s_cbranch_scc1 .LBB22_21
; %bb.14:
	s_mul_u64 s[4:5], s[4:5], s[10:11]
	s_mul_u64 s[6:7], s[12:13], s[6:7]
	;; [unrolled: 1-line block ×3, first 2 shown]
	s_add_nc_u64 s[4:5], s[6:7], s[4:5]
	v_dual_mov_b32 v3, 0 :: v_dual_lshlrev_b32 v2, 2, v0
	s_add_nc_u64 s[4:5], s[4:5], s[8:9]
	s_mul_u64 s[6:7], s[38:39], s[36:37]
	s_lshr_b64 s[4:5], s[4:5], 2
	s_cmp_lg_u64 s[22:23], 0
	v_add3_u32 v6, v2, 0, 0x80
	s_cselect_b32 s1, -1, 0
	v_mov_b32_e32 v4, s0
	v_cndmask_b32_e64 v5, 0, 1, s1
	s_and_b32 s1, s1, exec_lo
	s_cselect_b32 s5, s5, 0
	s_cselect_b32 s4, s4, 0
	s_lshl_b64 s[6:7], s[6:7], 2
	s_lshl_b64 s[4:5], s[4:5], 2
	s_lshl_b32 s10, s17, 2
	s_add_nc_u64 s[4:5], s[22:23], s[4:5]
	s_add_nc_u64 s[6:7], s[20:21], s[6:7]
	s_mov_b32 s1, s11
	s_mov_b32 s3, s11
	s_branch .LBB22_17
.LBB22_15:                              ;   in Loop: Header=BB22_17 Depth=1
	s_wait_loadcnt 0x0
	s_delay_alu instid0(VALU_DEP_1)
	v_dual_fmac_f32 v8, s2, v7 :: v_dual_max_num_f32 v4, v4, v4
	ds_store_b32 v6, v8
	v_max_num_f32_e32 v4, v4, v8
.LBB22_16:                              ;   in Loop: Header=BB22_17 Depth=1
	s_or_b32 exec_lo, exec_lo, s8
	s_add_co_i32 s3, s3, s17
	v_add_nc_u64_e32 v[2:3], s[10:11], v[2:3]
	s_cmp_ge_i32 s3, s34
	v_add_nc_u32_e32 v6, s10, v6
	s_cselect_b32 s8, -1, 0
	s_xor_b32 s0, s0, -1
	s_delay_alu instid0(SALU_CYCLE_1) | instskip(NEXT) | instid1(SALU_CYCLE_1)
	s_or_b32 s0, s0, s8
	s_and_b32 s0, exec_lo, s0
	s_delay_alu instid0(SALU_CYCLE_1) | instskip(NEXT) | instid1(SALU_CYCLE_1)
	s_or_b32 s1, s0, s1
	s_and_not1_b32 exec_lo, exec_lo, s1
	s_cbranch_execz .LBB22_20
.LBB22_17:                              ; =>This Inner Loop Header: Depth=1
	v_add_nc_u32_e32 v7, s3, v0
	s_delay_alu instid0(VALU_DEP_1)
	v_cmp_gt_i32_e64 s0, s34, v7
	s_and_saveexec_b32 s8, s0
	s_cbranch_execz .LBB22_16
; %bb.18:                               ;   in Loop: Header=BB22_17 Depth=1
	v_add_nc_u64_e32 v[8:9], s[6:7], v[2:3]
	v_cmp_ne_u32_e32 vcc_lo, 1, v5
	global_load_b32 v7, v[8:9], off
	s_wait_xcnt 0x0
	v_mov_b32_e32 v8, 0
	s_cbranch_vccnz .LBB22_15
; %bb.19:                               ;   in Loop: Header=BB22_17 Depth=1
	v_add_nc_u64_e32 v[8:9], s[4:5], v[2:3]
	global_load_b32 v8, v[8:9], off
	s_wait_loadcnt 0x0
	s_wait_xcnt 0x0
	v_mul_f32_e32 v8, v1, v8
	s_branch .LBB22_15
.LBB22_20:
	s_or_b32 exec_lo, exec_lo, s1
.LBB22_21:
	v_mbcnt_lo_u32_b32 v1, -1, 0
	s_cmp_gt_u32 s17, 32
	s_mov_b32 s20, 0
	s_cselect_b32 s21, -1, 0
	s_cmp_lt_u32 s17, 33
	v_xor_b32_e32 v2, 16, v1
	s_mov_b32 s22, -1
	v_xor_b32_e32 v3, 8, v1
	s_delay_alu instid0(VALU_DEP_2) | instskip(SKIP_1) | instid1(VALU_DEP_3)
	v_cmp_gt_i32_e32 vcc_lo, 32, v2
	v_cndmask_b32_e32 v2, v1, v2, vcc_lo
	v_cmp_gt_i32_e32 vcc_lo, 32, v3
	s_delay_alu instid0(VALU_DEP_2) | instskip(SKIP_4) | instid1(VALU_DEP_1)
	v_dual_lshlrev_b32 v41, 2, v2 :: v_dual_cndmask_b32 v3, v1, v3, vcc_lo
	ds_bpermute_b32 v2, v41, v4
	v_dual_max_num_f32 v4, v4, v4 :: v_dual_lshlrev_b32 v42, 2, v3
	s_wait_dscnt 0x0
	v_max_num_f32_e32 v2, v2, v2
	v_dual_max_num_f32 v2, v4, v2 :: v_dual_bitop2_b32 v4, 4, v1 bitop3:0x14
	ds_bpermute_b32 v3, v42, v2
	v_cmp_gt_i32_e32 vcc_lo, 32, v4
	s_wait_dscnt 0x0
	v_dual_cndmask_b32 v4, v1, v4 :: v_dual_max_num_f32 v3, v3, v3
	s_delay_alu instid0(VALU_DEP_1) | instskip(SKIP_3) | instid1(VALU_DEP_1)
	v_dual_max_num_f32 v2, v2, v3 :: v_dual_lshlrev_b32 v43, 2, v4
	ds_bpermute_b32 v3, v43, v2
	s_wait_dscnt 0x0
	v_dual_max_num_f32 v3, v3, v3 :: v_dual_bitop2_b32 v4, 2, v1 bitop3:0x14
	v_cmp_gt_i32_e32 vcc_lo, 32, v4
	s_delay_alu instid0(VALU_DEP_2) | instskip(NEXT) | instid1(VALU_DEP_1)
	v_dual_max_num_f32 v2, v2, v3 :: v_dual_cndmask_b32 v4, v1, v4, vcc_lo
	v_dual_lshlrev_b32 v44, 2, v4 :: v_dual_bitop2_b32 v4, 1, v1 bitop3:0x14
	ds_bpermute_b32 v3, v44, v2
	v_cmp_gt_i32_e32 vcc_lo, 32, v4
	v_cndmask_b32_e32 v1, v1, v4, vcc_lo
	s_wait_dscnt 0x0
	s_delay_alu instid0(VALU_DEP_1) | instskip(NEXT) | instid1(VALU_DEP_1)
	v_dual_lshlrev_b32 v45, 2, v1 :: v_dual_max_num_f32 v3, v3, v3
	v_max_num_f32_e32 v2, v2, v3
	ds_bpermute_b32 v1, v45, v2
	s_wait_dscnt 0x0
	v_max_num_f32_e32 v1, v1, v1
	s_delay_alu instid0(VALU_DEP_1)
	v_max_num_f32_e32 v46, v2, v1
	s_cbranch_scc1 .LBB22_30
; %bb.22:
	s_cmp_gt_u32 s17, 0x400
	s_mov_b32 s22, 0
	s_cselect_b32 s0, -1, 0
	s_and_b32 s1, s17, 31
	s_delay_alu instid0(SALU_CYCLE_1) | instskip(SKIP_1) | instid1(SALU_CYCLE_1)
	s_cmp_lg_u32 s1, 0
	s_cselect_b32 s1, -1, 0
	s_or_b32 s1, s0, s1
	s_mov_b32 s0, -1
	s_and_b32 vcc_lo, exec_lo, s1
	s_mov_b32 s1, 0
	s_cbranch_vccnz .LBB22_33
; %bb.23:
	s_and_not1_b32 vcc_lo, exec_lo, s0
	s_cbranch_vccz .LBB22_34
.LBB22_24:
	s_and_b32 vcc_lo, exec_lo, s22
	s_cbranch_vccz .LBB22_31
.LBB22_25:
	s_and_not1_b32 vcc_lo, exec_lo, s35
	s_cbranch_vccnz .LBB22_39
; %bb.26:
	v_lshlrev_b32_e32 v1, 2, v0
	s_mov_b32 s2, 0
	s_lshl_b32 s3, s17, 2
	s_mov_b32 s4, 0
	s_delay_alu instid0(VALU_DEP_1)
	v_add3_u32 v2, v1, 0, 0x80
	v_mov_b32_e32 v1, 0
	s_branch .LBB22_28
.LBB22_27:                              ;   in Loop: Header=BB22_28 Depth=1
	s_or_b32 exec_lo, exec_lo, s5
	s_add_co_i32 s4, s4, s17
	v_add_nc_u32_e32 v2, s3, v2
	s_cmp_ge_i32 s4, s34
	s_cselect_b32 s0, -1, 0
	s_xor_b32 s5, vcc_lo, -1
	s_delay_alu instid0(SALU_CYCLE_1) | instskip(NEXT) | instid1(SALU_CYCLE_1)
	s_or_b32 s0, s5, s0
	s_and_b32 s0, exec_lo, s0
	s_delay_alu instid0(SALU_CYCLE_1) | instskip(NEXT) | instid1(SALU_CYCLE_1)
	s_or_b32 s2, s0, s2
	s_and_not1_b32 exec_lo, exec_lo, s2
	s_cbranch_execz .LBB22_32
.LBB22_28:                              ; =>This Inner Loop Header: Depth=1
	v_add_nc_u32_e32 v3, s4, v0
	s_delay_alu instid0(VALU_DEP_1)
	v_cmp_gt_i32_e32 vcc_lo, s34, v3
	s_and_saveexec_b32 s5, vcc_lo
	s_cbranch_execz .LBB22_27
; %bb.29:                               ;   in Loop: Header=BB22_28 Depth=1
	ds_load_b32 v3, v2
	s_wait_dscnt 0x0
	v_sub_f32_e32 v3, v3, v46
	s_delay_alu instid0(VALU_DEP_1) | instskip(NEXT) | instid1(VALU_DEP_1)
	v_mul_f32_e32 v4, 0x3fb8aa3b, v3
	v_fma_f32 v5, 0x3fb8aa3b, v3, -v4
	v_rndne_f32_e32 v6, v4
	s_delay_alu instid0(VALU_DEP_1) | instskip(NEXT) | instid1(VALU_DEP_1)
	v_dual_fmac_f32 v5, 0x32a5705f, v3 :: v_dual_sub_f32 v4, v4, v6
	v_add_f32_e32 v4, v4, v5
	v_cvt_i32_f32_e32 v5, v6
	v_cmp_ngt_f32_e64 s0, 0xc2ce8ed0, v3
	s_delay_alu instid0(VALU_DEP_3) | instskip(SKIP_1) | instid1(TRANS32_DEP_1)
	v_exp_f32_e32 v4, v4
	v_nop
	v_ldexp_f32 v4, v4, v5
	s_delay_alu instid0(VALU_DEP_1) | instskip(SKIP_1) | instid1(VALU_DEP_1)
	v_cndmask_b32_e64 v4, 0, v4, s0
	v_cmp_nlt_f32_e64 s0, 0x42b17218, v3
	v_cndmask_b32_e64 v3, 0x7f800000, v4, s0
	s_delay_alu instid0(VALU_DEP_1)
	v_add_f32_e32 v1, v1, v3
	ds_store_b32 v2, v3
	s_branch .LBB22_27
.LBB22_30:
	s_mov_b32 s1, 0
	s_and_b32 vcc_lo, exec_lo, s22
	s_cbranch_vccnz .LBB22_25
.LBB22_31:
	s_mov_b32 s0, 0
                                        ; implicit-def: $vgpr1
	s_and_b32 vcc_lo, exec_lo, s1
	s_cbranch_vccnz .LBB22_45
	s_branch .LBB22_46
.LBB22_32:
	s_or_b32 exec_lo, exec_lo, s2
	s_branch .LBB22_40
.LBB22_33:
	s_get_pc_i64 s[0:1]
	s_add_nc_u64 s[0:1], s[0:1], .str.2@rel64+4
	s_get_pc_i64 s[2:3]
	s_add_nc_u64 s[2:3], s[2:3], .str.3@rel64+4
	s_get_pc_i64 s[4:5]
	s_add_nc_u64 s[4:5], s[4:5], __PRETTY_FUNCTION__._ZL12block_reduceIL19block_reduce_method0ELj0EfET1_S1_PS1_@rel64+4
	v_dual_mov_b32 v47, v0 :: v_dual_mov_b32 v0, s0
	v_dual_mov_b32 v1, s1 :: v_dual_mov_b32 v2, s2
	v_dual_mov_b32 v3, s3 :: v_dual_mov_b32 v4, 0x271
	v_dual_mov_b32 v5, s4 :: v_dual_mov_b32 v6, s5
	s_get_pc_i64 s[6:7]
	s_add_nc_u64 s[6:7], s[6:7], __assert_fail@rel64+4
	s_mov_b64 s[8:9], s[18:19]
	s_swap_pc_i64 s[30:31], s[6:7]
	v_mov_b32_e32 v0, v47
	s_mov_b32 s1, -1
	s_cbranch_execnz .LBB22_24
.LBB22_34:
	s_delay_alu instid0(VALU_DEP_1) | instskip(SKIP_1) | instid1(VALU_DEP_1)
	v_and_b32_e32 v1, 31, v0
	s_mov_b32 s0, exec_lo
	v_cmpx_eq_u32_e32 0, v1
; %bb.35:
	v_lshrrev_b32_e32 v2, 3, v0
	s_delay_alu instid0(VALU_DEP_1)
	v_add_nc_u32_e32 v2, 0, v2
	ds_store_b32 v2, v46
; %bb.36:
	s_or_b32 exec_lo, exec_lo, s0
	s_lshr_b32 s0, s17, 5
	v_mov_b32_e32 v2, 0xff800000
	v_cmp_gt_u32_e32 vcc_lo, s0, v1
	s_wait_storecnt_dscnt 0x0
	s_barrier_signal -1
	s_barrier_wait -1
	s_and_saveexec_b32 s0, vcc_lo
; %bb.37:
	v_lshl_add_u32 v1, v1, 2, 0
	ds_load_b32 v2, v1
; %bb.38:
	s_or_b32 exec_lo, exec_lo, s0
	s_wait_dscnt 0x0
	ds_bpermute_b32 v1, v41, v2
	s_wait_dscnt 0x0
	v_dual_max_num_f32 v2, v2, v2 :: v_dual_max_num_f32 v1, v1, v1
	s_delay_alu instid0(VALU_DEP_1) | instskip(SKIP_3) | instid1(VALU_DEP_1)
	v_max_num_f32_e32 v1, v2, v1
	ds_bpermute_b32 v2, v42, v1
	s_wait_dscnt 0x0
	v_max_num_f32_e32 v2, v2, v2
	v_max_num_f32_e32 v1, v1, v2
	ds_bpermute_b32 v2, v43, v1
	s_wait_dscnt 0x0
	v_max_num_f32_e32 v2, v2, v2
	s_delay_alu instid0(VALU_DEP_1) | instskip(SKIP_3) | instid1(VALU_DEP_1)
	v_max_num_f32_e32 v1, v1, v2
	ds_bpermute_b32 v2, v44, v1
	s_wait_dscnt 0x0
	v_max_num_f32_e32 v2, v2, v2
	v_max_num_f32_e32 v1, v1, v2
	ds_bpermute_b32 v2, v45, v1
	s_wait_dscnt 0x0
	v_max_num_f32_e32 v2, v2, v2
	s_delay_alu instid0(VALU_DEP_1)
	v_max_num_f32_e32 v46, v1, v2
	s_cbranch_execnz .LBB22_25
	s_branch .LBB22_31
.LBB22_39:
	v_mov_b32_e32 v1, 0
.LBB22_40:
	ds_bpermute_b32 v2, v41, v1
	s_and_not1_b32 vcc_lo, exec_lo, s21
	s_wait_dscnt 0x0
	v_add_f32_e32 v1, v1, v2
	ds_bpermute_b32 v2, v42, v1
	s_wait_dscnt 0x0
	v_add_f32_e32 v1, v1, v2
	ds_bpermute_b32 v2, v43, v1
	;; [unrolled: 3-line block ×4, first 2 shown]
	s_cbranch_vccnz .LBB22_43
; %bb.41:
	s_cmp_gt_u32 s17, 0x400
	s_mov_b32 s20, 0
	s_cselect_b32 s0, -1, 0
	s_and_b32 s2, s17, 31
	s_delay_alu instid0(SALU_CYCLE_1) | instskip(SKIP_1) | instid1(SALU_CYCLE_1)
	s_cmp_lg_u32 s2, 0
	s_cselect_b32 s2, -1, 0
	s_or_b32 s0, s0, s2
	s_delay_alu instid0(SALU_CYCLE_1)
	s_and_b32 vcc_lo, exec_lo, s0
	s_mov_b32 s0, -1
	s_cbranch_vccz .LBB22_44
; %bb.42:
	s_get_pc_i64 s[0:1]
	s_add_nc_u64 s[0:1], s[0:1], .str.2@rel64+4
	s_get_pc_i64 s[2:3]
	s_add_nc_u64 s[2:3], s[2:3], .str.3@rel64+4
	s_get_pc_i64 s[4:5]
	s_add_nc_u64 s[4:5], s[4:5], __PRETTY_FUNCTION__._ZL12block_reduceIL19block_reduce_method1ELj0EfET1_S1_PS1_@rel64+4
	v_dual_mov_b32 v56, v0 :: v_dual_mov_b32 v0, s0
	v_dual_mov_b32 v1, s1 :: v_dual_mov_b32 v2, s2
	v_dual_mov_b32 v3, s3 :: v_dual_mov_b32 v4, 0x271
	v_dual_mov_b32 v5, s4 :: v_dual_mov_b32 v6, s5
	s_get_pc_i64 s[6:7]
	s_add_nc_u64 s[6:7], s[6:7], __assert_fail@rel64+4
	s_mov_b64 s[8:9], s[18:19]
	s_swap_pc_i64 s[30:31], s[6:7]
	v_mov_b32_e32 v0, v56
	s_mov_b32 s1, -1
	s_mov_b32 s0, 0
	s_branch .LBB22_44
.LBB22_43:
	s_mov_b32 s0, 0
	s_mov_b32 s20, -1
.LBB22_44:
	s_wait_dscnt 0x0
	v_add_f32_e32 v1, v47, v55
	s_and_b32 vcc_lo, exec_lo, s1
	s_cbranch_vccz .LBB22_46
.LBB22_45:
	; divergent unreachable
.LBB22_46:
	s_and_not1_b32 vcc_lo, exec_lo, s0
	s_cbranch_vccz .LBB22_48
; %bb.47:
	s_and_b32 vcc_lo, exec_lo, s20
	s_cbranch_vccnz .LBB22_53
	s_branch .LBB22_60
.LBB22_48:
	v_and_b32_e32 v2, 31, v0
	s_mov_b32 s0, exec_lo
	s_delay_alu instid0(VALU_DEP_1)
	v_cmpx_eq_u32_e32 0, v2
; %bb.49:
	v_lshrrev_b32_e32 v3, 3, v0
	s_delay_alu instid0(VALU_DEP_1)
	v_add_nc_u32_e32 v3, 0, v3
	ds_store_b32 v3, v1
; %bb.50:
	s_or_b32 exec_lo, exec_lo, s0
	s_lshr_b32 s0, s17, 5
	v_mov_b32_e32 v1, 0
	v_cmp_gt_u32_e32 vcc_lo, s0, v2
	s_wait_storecnt_dscnt 0x0
	s_barrier_signal -1
	s_barrier_wait -1
	s_and_saveexec_b32 s0, vcc_lo
; %bb.51:
	v_lshl_add_u32 v1, v2, 2, 0
	ds_load_b32 v1, v1
; %bb.52:
	s_or_b32 exec_lo, exec_lo, s0
	s_wait_dscnt 0x0
	ds_bpermute_b32 v2, v41, v1
	s_wait_dscnt 0x0
	v_add_f32_e32 v1, v1, v2
	ds_bpermute_b32 v2, v42, v1
	s_wait_dscnt 0x0
	v_add_f32_e32 v1, v1, v2
	;; [unrolled: 3-line block ×5, first 2 shown]
	s_cbranch_execz .LBB22_60
.LBB22_53:
	s_and_not1_b32 vcc_lo, exec_lo, s29
	s_cbranch_vccnz .LBB22_55
; %bb.54:
	v_mov_b32_e32 v2, s28
	global_load_b32 v2, v2, s[24:25] scale_offset
	s_wait_loadcnt 0x0
	v_sub_f32_e32 v2, v2, v46
	s_delay_alu instid0(VALU_DEP_1) | instskip(NEXT) | instid1(VALU_DEP_1)
	v_mul_f32_e32 v3, 0x3fb8aa3b, v2
	v_fma_f32 v4, 0x3fb8aa3b, v2, -v3
	v_rndne_f32_e32 v5, v3
	s_delay_alu instid0(VALU_DEP_1) | instskip(NEXT) | instid1(VALU_DEP_1)
	v_dual_fmamk_f32 v4, v2, 0x32a5705f, v4 :: v_dual_sub_f32 v3, v3, v5
	v_add_f32_e32 v3, v3, v4
	v_cvt_i32_f32_e32 v4, v5
	v_cmp_ngt_f32_e32 vcc_lo, 0xc2ce8ed0, v2
	s_delay_alu instid0(VALU_DEP_3) | instskip(SKIP_1) | instid1(TRANS32_DEP_1)
	v_exp_f32_e32 v3, v3
	v_nop
	v_ldexp_f32 v3, v3, v4
	s_delay_alu instid0(VALU_DEP_1) | instskip(SKIP_1) | instid1(VALU_DEP_2)
	v_cndmask_b32_e32 v3, 0, v3, vcc_lo
	v_cmp_nlt_f32_e32 vcc_lo, 0x42b17218, v2
	v_cndmask_b32_e32 v2, 0x7f800000, v3, vcc_lo
	s_delay_alu instid0(VALU_DEP_1)
	v_add_f32_e32 v1, v1, v2
.LBB22_55:
	s_and_not1_b32 vcc_lo, exec_lo, s35
	s_cbranch_vccnz .LBB22_60
; %bb.56:
	s_delay_alu instid0(VALU_DEP_1) | instskip(SKIP_4) | instid1(SALU_CYCLE_1)
	v_div_scale_f32 v2, null, v1, v1, 1.0
	v_div_scale_f32 v5, vcc_lo, 1.0, v1, 1.0
	s_mul_u64 s[0:1], s[38:39], s[36:37]
	v_rcp_f32_e32 v3, v2
	s_lshl_b64 s[0:1], s[0:1], 2
                                        ; implicit-def: $sgpr4
	s_add_nc_u64 s[2:3], s[26:27], s[0:1]
	s_mov_b32 s1, 0
	s_lshl_b32 s0, s17, 2
	v_nop
	s_delay_alu instid0(TRANS32_DEP_1) | instskip(NEXT) | instid1(VALU_DEP_1)
	v_fma_f32 v4, -v2, v3, 1.0
	v_fmac_f32_e32 v3, v4, v3
	s_delay_alu instid0(VALU_DEP_1) | instskip(NEXT) | instid1(VALU_DEP_1)
	v_mul_f32_e32 v6, v5, v3
	v_fma_f32 v4, -v2, v6, v5
	s_delay_alu instid0(VALU_DEP_1) | instskip(NEXT) | instid1(VALU_DEP_1)
	v_dual_fmac_f32 v6, v4, v3 :: v_dual_lshlrev_b32 v4, 2, v0
	v_dual_fma_f32 v2, -v2, v6, v5 :: v_dual_mov_b32 v5, 0
	s_delay_alu instid0(VALU_DEP_1) | instskip(NEXT) | instid1(VALU_DEP_2)
	v_div_fmas_f32 v6, v2, v3, v6
	v_add_nc_u64_e32 v[2:3], s[2:3], v[4:5]
	v_add3_u32 v4, v4, 0, 0x80
	s_mov_b32 s2, s1
	s_mov_b32 s3, s1
	v_div_fixup_f32 v1, v6, v1, 1.0
	s_branch .LBB22_58
.LBB22_57:                              ;   in Loop: Header=BB22_58 Depth=1
	s_or_b32 exec_lo, exec_lo, s5
	s_delay_alu instid0(SALU_CYCLE_1) | instskip(NEXT) | instid1(SALU_CYCLE_1)
	s_and_b32 s5, exec_lo, s4
	s_or_b32 s2, s5, s2
	s_delay_alu instid0(SALU_CYCLE_1)
	s_and_not1_b32 exec_lo, exec_lo, s2
	s_cbranch_execz .LBB22_60
.LBB22_58:                              ; =>This Inner Loop Header: Depth=1
	v_add_nc_u32_e32 v5, s3, v0
	s_or_b32 s4, s4, exec_lo
	s_mov_b32 s5, exec_lo
	s_delay_alu instid0(VALU_DEP_1)
	v_cmpx_gt_i32_e64 s34, v5
	s_cbranch_execz .LBB22_57
; %bb.59:                               ;   in Loop: Header=BB22_58 Depth=1
	ds_load_b32 v5, v4
	s_add_co_i32 s3, s3, s17
	v_add_nc_u32_e32 v4, s0, v4
	s_cmp_ge_i32 s3, s34
	s_cselect_b32 s6, -1, 0
	s_and_not1_b32 s4, s4, exec_lo
	s_and_b32 s6, s6, exec_lo
	s_delay_alu instid0(SALU_CYCLE_1)
	s_or_b32 s4, s4, s6
	s_wait_dscnt 0x0
	v_mul_f32_e32 v5, v1, v5
	global_store_b32 v[2:3], v5, off
	s_wait_xcnt 0x0
	v_add_nc_u64_e32 v[2:3], s[0:1], v[2:3]
	s_branch .LBB22_57
.LBB22_60:
	s_endpgm
	.section	.rodata,"a",@progbits
	.p2align	6, 0x0
	.amdhsa_kernel _ZL12soft_max_f32ILb1ELi0ELi0EfEvPKfPKT2_S1_Pf15soft_max_params
		.amdhsa_group_segment_fixed_size 0
		.amdhsa_private_segment_fixed_size 64
		.amdhsa_kernarg_size 416
		.amdhsa_user_sgpr_count 2
		.amdhsa_user_sgpr_dispatch_ptr 0
		.amdhsa_user_sgpr_queue_ptr 0
		.amdhsa_user_sgpr_kernarg_segment_ptr 1
		.amdhsa_user_sgpr_dispatch_id 0
		.amdhsa_user_sgpr_kernarg_preload_length 0
		.amdhsa_user_sgpr_kernarg_preload_offset 0
		.amdhsa_user_sgpr_private_segment_size 0
		.amdhsa_wavefront_size32 1
		.amdhsa_uses_dynamic_stack 0
		.amdhsa_enable_private_segment 1
		.amdhsa_system_sgpr_workgroup_id_x 1
		.amdhsa_system_sgpr_workgroup_id_y 1
		.amdhsa_system_sgpr_workgroup_id_z 1
		.amdhsa_system_sgpr_workgroup_info 0
		.amdhsa_system_vgpr_workitem_id 0
		.amdhsa_next_free_vgpr 57
		.amdhsa_next_free_sgpr 40
		.amdhsa_named_barrier_count 0
		.amdhsa_reserve_vcc 1
		.amdhsa_float_round_mode_32 0
		.amdhsa_float_round_mode_16_64 0
		.amdhsa_float_denorm_mode_32 3
		.amdhsa_float_denorm_mode_16_64 3
		.amdhsa_fp16_overflow 0
		.amdhsa_memory_ordered 1
		.amdhsa_forward_progress 1
		.amdhsa_inst_pref_size 43
		.amdhsa_round_robin_scheduling 0
		.amdhsa_exception_fp_ieee_invalid_op 0
		.amdhsa_exception_fp_denorm_src 0
		.amdhsa_exception_fp_ieee_div_zero 0
		.amdhsa_exception_fp_ieee_overflow 0
		.amdhsa_exception_fp_ieee_underflow 0
		.amdhsa_exception_fp_ieee_inexact 0
		.amdhsa_exception_int_div_zero 0
	.end_amdhsa_kernel
	.section	.text._ZL12soft_max_f32ILb1ELi0ELi0EfEvPKfPKT2_S1_Pf15soft_max_params,"axG",@progbits,_ZL12soft_max_f32ILb1ELi0ELi0EfEvPKfPKT2_S1_Pf15soft_max_params,comdat
.Lfunc_end22:
	.size	_ZL12soft_max_f32ILb1ELi0ELi0EfEvPKfPKT2_S1_Pf15soft_max_params, .Lfunc_end22-_ZL12soft_max_f32ILb1ELi0ELi0EfEvPKfPKT2_S1_Pf15soft_max_params
                                        ; -- End function
	.set _ZL12soft_max_f32ILb1ELi0ELi0EfEvPKfPKT2_S1_Pf15soft_max_params.num_vgpr, max(57, .L__assert_fail.num_vgpr)
	.set _ZL12soft_max_f32ILb1ELi0ELi0EfEvPKfPKT2_S1_Pf15soft_max_params.num_agpr, max(0, .L__assert_fail.num_agpr)
	.set _ZL12soft_max_f32ILb1ELi0ELi0EfEvPKfPKT2_S1_Pf15soft_max_params.numbered_sgpr, max(40, .L__assert_fail.numbered_sgpr)
	.set _ZL12soft_max_f32ILb1ELi0ELi0EfEvPKfPKT2_S1_Pf15soft_max_params.num_named_barrier, max(0, .L__assert_fail.num_named_barrier)
	.set _ZL12soft_max_f32ILb1ELi0ELi0EfEvPKfPKT2_S1_Pf15soft_max_params.private_seg_size, 0+max(.L__assert_fail.private_seg_size)
	.set _ZL12soft_max_f32ILb1ELi0ELi0EfEvPKfPKT2_S1_Pf15soft_max_params.uses_vcc, or(1, .L__assert_fail.uses_vcc)
	.set _ZL12soft_max_f32ILb1ELi0ELi0EfEvPKfPKT2_S1_Pf15soft_max_params.uses_flat_scratch, or(0, .L__assert_fail.uses_flat_scratch)
	.set _ZL12soft_max_f32ILb1ELi0ELi0EfEvPKfPKT2_S1_Pf15soft_max_params.has_dyn_sized_stack, or(0, .L__assert_fail.has_dyn_sized_stack)
	.set _ZL12soft_max_f32ILb1ELi0ELi0EfEvPKfPKT2_S1_Pf15soft_max_params.has_recursion, or(0, .L__assert_fail.has_recursion)
	.set _ZL12soft_max_f32ILb1ELi0ELi0EfEvPKfPKT2_S1_Pf15soft_max_params.has_indirect_call, or(0, .L__assert_fail.has_indirect_call)
	.section	.AMDGPU.csdata,"",@progbits
; Kernel info:
; codeLenInByte = 5380
; TotalNumSgprs: 42
; NumVgprs: 57
; ScratchSize: 64
; MemoryBound: 0
; FloatMode: 240
; IeeeMode: 1
; LDSByteSize: 0 bytes/workgroup (compile time only)
; SGPRBlocks: 0
; VGPRBlocks: 3
; NumSGPRsForWavesPerEU: 42
; NumVGPRsForWavesPerEU: 57
; NamedBarCnt: 0
; Occupancy: 16
; WaveLimiterHint : 1
; COMPUTE_PGM_RSRC2:SCRATCH_EN: 1
; COMPUTE_PGM_RSRC2:USER_SGPR: 2
; COMPUTE_PGM_RSRC2:TRAP_HANDLER: 0
; COMPUTE_PGM_RSRC2:TGID_X_EN: 1
; COMPUTE_PGM_RSRC2:TGID_Y_EN: 1
; COMPUTE_PGM_RSRC2:TGID_Z_EN: 1
; COMPUTE_PGM_RSRC2:TIDIG_COMP_CNT: 0
	.section	.text._ZL12soft_max_f32ILb0ELi0ELi0EfEvPKfPKT2_S1_Pf15soft_max_params,"axG",@progbits,_ZL12soft_max_f32ILb0ELi0ELi0EfEvPKfPKT2_S1_Pf15soft_max_params,comdat
	.globl	_ZL12soft_max_f32ILb0ELi0ELi0EfEvPKfPKT2_S1_Pf15soft_max_params ; -- Begin function _ZL12soft_max_f32ILb0ELi0ELi0EfEvPKfPKT2_S1_Pf15soft_max_params
	.p2align	8
	.type	_ZL12soft_max_f32ILb0ELi0ELi0EfEvPKfPKT2_S1_Pf15soft_max_params,@function
_ZL12soft_max_f32ILb0ELi0ELi0EfEvPKfPKT2_S1_Pf15soft_max_params: ; @_ZL12soft_max_f32ILb0ELi0ELi0EfEvPKfPKT2_S1_Pf15soft_max_params
; %bb.0:
	s_clause 0x1
	s_load_b256 s[4:11], s[0:1], 0x68
	s_load_b64 s[16:17], s[0:1], 0x88
	s_bfe_u32 s2, ttmp6, 0x40010
	s_and_b32 s3, ttmp7, 0xffff
	s_add_co_i32 s2, s2, 1
	s_bfe_u32 s12, ttmp6, 0x40004
	s_mul_i32 s2, s3, s2
	s_getreg_b32 s30, hwreg(HW_REG_IB_STS2, 6, 4)
	s_add_co_i32 s12, s12, s2
	s_cmp_eq_u32 s30, 0
	s_mov_b32 s29, 0
	s_cselect_b32 s28, s3, s12
	s_mov_b32 s32, 0
	s_wait_kmcnt 0x0
	s_and_b64 s[2:3], s[10:11], 0xffffffff00000000
	s_delay_alu instid0(SALU_CYCLE_1)
	s_cmp_lg_u64 s[2:3], 0
	s_cbranch_scc0 .LBB23_10
; %bb.1:
	s_ashr_i32 s2, s11, 31
	s_mov_b32 s19, s29
	s_mov_b32 s3, s2
	;; [unrolled: 1-line block ×3, first 2 shown]
	s_add_nc_u64 s[12:13], s[10:11], s[2:3]
	s_delay_alu instid0(SALU_CYCLE_1) | instskip(NEXT) | instid1(SALU_CYCLE_1)
	s_xor_b64 s[2:3], s[12:13], s[2:3]
	s_cvt_f32_u32 s11, s2
	s_cvt_f32_u32 s12, s3
	s_sub_nc_u64 s[14:15], 0, s[2:3]
	s_delay_alu instid0(SALU_CYCLE_2) | instskip(NEXT) | instid1(SALU_CYCLE_3)
	s_fmamk_f32 s11, s12, 0x4f800000, s11
	v_s_rcp_f32 s11, s11
	s_delay_alu instid0(TRANS32_DEP_1) | instskip(NEXT) | instid1(SALU_CYCLE_3)
	s_mul_f32 s11, s11, 0x5f7ffffc
	s_mul_f32 s12, s11, 0x2f800000
	s_delay_alu instid0(SALU_CYCLE_3) | instskip(NEXT) | instid1(SALU_CYCLE_3)
	s_trunc_f32 s12, s12
	s_fmamk_f32 s11, s12, 0xcf800000, s11
	s_cvt_u32_f32 s13, s12
	s_delay_alu instid0(SALU_CYCLE_2) | instskip(NEXT) | instid1(SALU_CYCLE_3)
	s_cvt_u32_f32 s12, s11
	s_mul_u64 s[20:21], s[14:15], s[12:13]
	s_delay_alu instid0(SALU_CYCLE_1)
	s_mul_hi_u32 s25, s12, s21
	s_mul_i32 s24, s12, s21
	s_mul_hi_u32 s18, s12, s20
	s_mul_i32 s22, s13, s20
	s_add_nc_u64 s[18:19], s[18:19], s[24:25]
	s_mul_hi_u32 s11, s13, s20
	s_mul_hi_u32 s26, s13, s21
	s_add_co_u32 s18, s18, s22
	s_add_co_ci_u32 s22, s19, s11
	s_mul_i32 s20, s13, s21
	s_add_co_ci_u32 s21, s26, 0
	s_delay_alu instid0(SALU_CYCLE_1) | instskip(SKIP_3) | instid1(SALU_CYCLE_1)
	s_add_nc_u64 s[18:19], s[22:23], s[20:21]
	s_mov_b32 s21, s29
	s_add_co_u32 s12, s12, s18
	s_cselect_b32 s11, -1, 0
	s_cmp_lg_u32 s11, 0
	s_add_co_ci_u32 s13, s13, s19
	s_mov_b32 s19, s29
	s_mul_u64 s[14:15], s[14:15], s[12:13]
	s_delay_alu instid0(SALU_CYCLE_1)
	s_mul_hi_u32 s23, s12, s15
	s_mul_i32 s22, s12, s15
	s_mul_hi_u32 s18, s12, s14
	s_mul_i32 s20, s13, s14
	s_add_nc_u64 s[18:19], s[18:19], s[22:23]
	s_mul_hi_u32 s11, s13, s14
	s_mul_hi_u32 s24, s13, s15
	s_mul_i32 s14, s13, s15
	s_add_co_u32 s15, s18, s20
	s_add_co_ci_u32 s20, s19, s11
	s_add_co_ci_u32 s15, s24, 0
	s_add_nc_u64 s[18:19], s[28:29], 0
	s_add_nc_u64 s[14:15], s[20:21], s[14:15]
	s_delay_alu instid0(SALU_CYCLE_1) | instskip(SKIP_1) | instid1(SALU_CYCLE_1)
	s_add_co_u32 s11, s12, s14
	s_cselect_b32 s12, -1, 0
	s_cmp_lg_u32 s12, 0
	s_add_co_ci_u32 s14, s13, s15
	s_xor_b64 s[12:13], s[18:19], 0
	s_mov_b32 s15, s29
	s_mul_hi_u32 s19, s12, s14
	s_mul_i32 s18, s12, s14
	s_mul_hi_u32 s20, s12, s11
	s_mul_hi_u32 s23, s13, s11
	s_mul_i32 s11, s13, s11
	s_add_nc_u64 s[18:19], s[20:21], s[18:19]
	s_mul_hi_u32 s22, s13, s14
	s_add_co_u32 s11, s18, s11
	s_mul_i32 s20, s13, s14
	s_add_co_ci_u32 s14, s19, s23
	s_add_co_ci_u32 s21, s22, 0
	s_delay_alu instid0(SALU_CYCLE_1) | instskip(NEXT) | instid1(SALU_CYCLE_1)
	s_add_nc_u64 s[14:15], s[14:15], s[20:21]
	s_and_b64 s[18:19], s[14:15], 0xffffffff00000000
	s_delay_alu instid0(SALU_CYCLE_1) | instskip(NEXT) | instid1(SALU_CYCLE_1)
	s_or_b32 s18, s18, s14
	s_mul_u64 s[14:15], s[2:3], s[18:19]
	s_delay_alu instid0(SALU_CYCLE_1)
	s_sub_co_u32 s11, s12, s14
	s_cselect_b32 s12, -1, 0
	s_sub_co_i32 s14, s13, s15
	s_cmp_lg_u32 s12, 0
	s_sub_co_ci_u32 s14, s14, s3
	s_sub_co_u32 s18, s11, s2
	s_cselect_b32 s19, -1, 0
	s_delay_alu instid0(SALU_CYCLE_1) | instskip(SKIP_1) | instid1(SALU_CYCLE_1)
	s_cmp_lg_u32 s19, 0
	s_sub_co_ci_u32 s20, s14, 0
	s_cmp_ge_u32 s20, s3
	s_cselect_b32 s21, -1, 0
	s_cmp_ge_u32 s18, s2
	s_cselect_b32 s22, -1, 0
	s_cmp_eq_u32 s20, s3
	s_cselect_b32 s21, s22, s21
	s_cmp_lg_u32 s19, 0
	s_sub_co_ci_u32 s14, s14, s3
	s_sub_co_u32 s19, s18, s2
	s_cselect_b32 s22, -1, 0
	s_delay_alu instid0(SALU_CYCLE_1)
	s_cmp_lg_u32 s22, 0
	s_sub_co_ci_u32 s14, s14, 0
	s_cmp_lg_u32 s21, 0
	s_cselect_b32 s18, s19, s18
	s_cselect_b32 s14, s14, s20
	s_cmp_lg_u32 s12, 0
	s_sub_co_ci_u32 s12, s13, s15
	s_delay_alu instid0(SALU_CYCLE_1)
	s_cmp_ge_u32 s12, s3
	s_cselect_b32 s13, -1, 0
	s_cmp_ge_u32 s11, s2
	s_cselect_b32 s2, -1, 0
	s_cmp_eq_u32 s12, s3
	s_cselect_b32 s2, s2, s13
	s_delay_alu instid0(SALU_CYCLE_1) | instskip(SKIP_2) | instid1(SALU_CYCLE_1)
	s_cmp_lg_u32 s2, 0
	s_cselect_b32 s3, s14, s12
	s_cselect_b32 s2, s18, s11
	s_xor_b64 s[2:3], s[2:3], 0
	s_delay_alu instid0(SALU_CYCLE_1)
	s_sub_nc_u64 s[12:13], s[2:3], 0
	s_and_not1_b32 vcc_lo, exec_lo, s29
	s_cbranch_vccnz .LBB23_3
.LBB23_2:
	v_cvt_f32_u32_e32 v1, s10
	s_sub_co_i32 s3, 0, s10
	s_mov_b32 s13, 0
	s_delay_alu instid0(VALU_DEP_1) | instskip(SKIP_1) | instid1(TRANS32_DEP_1)
	v_rcp_iflag_f32_e32 v1, v1
	v_nop
	v_mul_f32_e32 v1, 0x4f7ffffe, v1
	s_delay_alu instid0(VALU_DEP_1) | instskip(NEXT) | instid1(VALU_DEP_1)
	v_cvt_u32_f32_e32 v1, v1
	v_readfirstlane_b32 s2, v1
	s_mul_i32 s3, s3, s2
	s_delay_alu instid0(SALU_CYCLE_1) | instskip(NEXT) | instid1(SALU_CYCLE_1)
	s_mul_hi_u32 s3, s2, s3
	s_add_co_i32 s2, s2, s3
	s_delay_alu instid0(SALU_CYCLE_1) | instskip(NEXT) | instid1(SALU_CYCLE_1)
	s_mul_hi_u32 s2, s28, s2
	s_mul_i32 s2, s2, s10
	s_delay_alu instid0(SALU_CYCLE_1) | instskip(NEXT) | instid1(SALU_CYCLE_1)
	s_sub_co_i32 s2, s28, s2
	s_sub_co_i32 s3, s2, s10
	s_cmp_ge_u32 s2, s10
	s_cselect_b32 s2, s3, s2
	s_delay_alu instid0(SALU_CYCLE_1)
	s_sub_co_i32 s3, s2, s10
	s_cmp_ge_u32 s2, s10
	s_cselect_b32 s12, s3, s2
.LBB23_3:
	s_load_b64 s[2:3], s[0:1], 0x90
	s_bfe_u32 s10, ttmp6, 0x40014
	s_lshr_b32 s11, ttmp7, 16
	s_add_co_i32 s10, s10, 1
	s_bfe_u32 s14, ttmp6, 0x40008
	s_mul_i32 s10, s11, s10
	s_delay_alu instid0(SALU_CYCLE_1)
	s_add_co_i32 s14, s14, s10
	s_cmp_eq_u32 s30, 0
	s_cselect_b32 s10, s11, s14
	s_and_b64 s[14:15], s[16:17], 0xffffffff00000000
	s_mov_b32 s11, 0
	s_cmp_lg_u64 s[14:15], 0
	s_cbranch_scc0 .LBB23_11
; %bb.4:
	s_ashr_i32 s14, s17, 31
	s_mov_b32 s23, s11
	s_mov_b32 s15, s14
	;; [unrolled: 1-line block ×3, first 2 shown]
	s_add_nc_u64 s[18:19], s[16:17], s[14:15]
	s_delay_alu instid0(SALU_CYCLE_1) | instskip(NEXT) | instid1(SALU_CYCLE_1)
	s_xor_b64 s[14:15], s[18:19], s[14:15]
	s_cvt_f32_u32 s17, s14
	s_cvt_f32_u32 s18, s15
	s_sub_nc_u64 s[20:21], 0, s[14:15]
	s_delay_alu instid0(SALU_CYCLE_2) | instskip(NEXT) | instid1(SALU_CYCLE_3)
	s_fmamk_f32 s17, s18, 0x4f800000, s17
	v_s_rcp_f32 s17, s17
	s_delay_alu instid0(TRANS32_DEP_1) | instskip(NEXT) | instid1(SALU_CYCLE_3)
	s_mul_f32 s17, s17, 0x5f7ffffc
	s_mul_f32 s18, s17, 0x2f800000
	s_delay_alu instid0(SALU_CYCLE_3) | instskip(NEXT) | instid1(SALU_CYCLE_3)
	s_trunc_f32 s18, s18
	s_fmamk_f32 s17, s18, 0xcf800000, s17
	s_cvt_u32_f32 s19, s18
	s_delay_alu instid0(SALU_CYCLE_2) | instskip(NEXT) | instid1(SALU_CYCLE_3)
	s_cvt_u32_f32 s18, s17
	s_mul_u64 s[24:25], s[20:21], s[18:19]
	s_delay_alu instid0(SALU_CYCLE_1)
	s_mul_hi_u32 s35, s18, s25
	s_mul_i32 s34, s18, s25
	s_mul_hi_u32 s22, s18, s24
	s_mul_i32 s26, s19, s24
	s_add_nc_u64 s[22:23], s[22:23], s[34:35]
	s_mul_hi_u32 s17, s19, s24
	s_mul_hi_u32 s29, s19, s25
	s_add_co_u32 s22, s22, s26
	s_add_co_ci_u32 s26, s23, s17
	s_mul_i32 s24, s19, s25
	s_add_co_ci_u32 s25, s29, 0
	s_delay_alu instid0(SALU_CYCLE_1) | instskip(SKIP_3) | instid1(SALU_CYCLE_1)
	s_add_nc_u64 s[22:23], s[26:27], s[24:25]
	s_mov_b32 s25, s11
	s_add_co_u32 s18, s18, s22
	s_cselect_b32 s17, -1, 0
	s_cmp_lg_u32 s17, 0
	s_add_co_ci_u32 s19, s19, s23
	s_mov_b32 s23, s11
	s_mul_u64 s[20:21], s[20:21], s[18:19]
	s_delay_alu instid0(SALU_CYCLE_1)
	s_mul_hi_u32 s27, s18, s21
	s_mul_i32 s26, s18, s21
	s_mul_hi_u32 s22, s18, s20
	s_mul_i32 s24, s19, s20
	s_add_nc_u64 s[22:23], s[22:23], s[26:27]
	s_mul_hi_u32 s17, s19, s20
	s_mul_hi_u32 s29, s19, s21
	s_mul_i32 s20, s19, s21
	s_add_co_u32 s21, s22, s24
	s_add_co_ci_u32 s24, s23, s17
	s_add_co_ci_u32 s21, s29, 0
	s_add_nc_u64 s[22:23], s[10:11], 0
	s_add_nc_u64 s[20:21], s[24:25], s[20:21]
	s_delay_alu instid0(SALU_CYCLE_1) | instskip(SKIP_1) | instid1(SALU_CYCLE_1)
	s_add_co_u32 s17, s18, s20
	s_cselect_b32 s18, -1, 0
	s_cmp_lg_u32 s18, 0
	s_add_co_ci_u32 s20, s19, s21
	s_xor_b64 s[18:19], s[22:23], 0
	s_mov_b32 s21, s11
	s_mul_hi_u32 s23, s18, s20
	s_mul_i32 s22, s18, s20
	s_mul_hi_u32 s24, s18, s17
	s_mul_hi_u32 s27, s19, s17
	s_mul_i32 s17, s19, s17
	s_add_nc_u64 s[22:23], s[24:25], s[22:23]
	s_mul_hi_u32 s26, s19, s20
	s_add_co_u32 s17, s22, s17
	s_mul_i32 s24, s19, s20
	s_add_co_ci_u32 s20, s23, s27
	s_add_co_ci_u32 s25, s26, 0
	s_delay_alu instid0(SALU_CYCLE_1) | instskip(NEXT) | instid1(SALU_CYCLE_1)
	s_add_nc_u64 s[20:21], s[20:21], s[24:25]
	s_and_b64 s[22:23], s[20:21], 0xffffffff00000000
	s_delay_alu instid0(SALU_CYCLE_1) | instskip(NEXT) | instid1(SALU_CYCLE_1)
	s_or_b32 s22, s22, s20
	s_mul_u64 s[20:21], s[14:15], s[22:23]
	s_delay_alu instid0(SALU_CYCLE_1)
	s_sub_co_u32 s17, s18, s20
	s_cselect_b32 s18, -1, 0
	s_sub_co_i32 s20, s19, s21
	s_cmp_lg_u32 s18, 0
	s_sub_co_ci_u32 s20, s20, s15
	s_sub_co_u32 s22, s17, s14
	s_cselect_b32 s23, -1, 0
	s_delay_alu instid0(SALU_CYCLE_1) | instskip(SKIP_1) | instid1(SALU_CYCLE_1)
	s_cmp_lg_u32 s23, 0
	s_sub_co_ci_u32 s24, s20, 0
	s_cmp_ge_u32 s24, s15
	s_cselect_b32 s25, -1, 0
	s_cmp_ge_u32 s22, s14
	s_cselect_b32 s26, -1, 0
	s_cmp_eq_u32 s24, s15
	s_cselect_b32 s25, s26, s25
	s_cmp_lg_u32 s23, 0
	s_sub_co_ci_u32 s20, s20, s15
	s_sub_co_u32 s23, s22, s14
	s_cselect_b32 s26, -1, 0
	s_delay_alu instid0(SALU_CYCLE_1)
	s_cmp_lg_u32 s26, 0
	s_sub_co_ci_u32 s20, s20, 0
	s_cmp_lg_u32 s25, 0
	s_cselect_b32 s22, s23, s22
	s_cselect_b32 s20, s20, s24
	s_cmp_lg_u32 s18, 0
	s_sub_co_ci_u32 s18, s19, s21
	s_delay_alu instid0(SALU_CYCLE_1)
	s_cmp_ge_u32 s18, s15
	s_cselect_b32 s19, -1, 0
	s_cmp_ge_u32 s17, s14
	s_cselect_b32 s14, -1, 0
	s_cmp_eq_u32 s18, s15
	s_cselect_b32 s14, s14, s19
	s_delay_alu instid0(SALU_CYCLE_1) | instskip(SKIP_2) | instid1(SALU_CYCLE_1)
	s_cmp_lg_u32 s14, 0
	s_cselect_b32 s15, s20, s18
	s_cselect_b32 s14, s22, s17
	s_xor_b64 s[14:15], s[14:15], 0
	s_delay_alu instid0(SALU_CYCLE_1)
	s_sub_nc_u64 s[14:15], s[14:15], 0
	s_and_not1_b32 vcc_lo, exec_lo, s11
	s_cbranch_vccnz .LBB23_6
.LBB23_5:
	v_cvt_f32_u32_e32 v1, s16
	s_sub_co_i32 s14, 0, s16
	s_mov_b32 s15, 0
	s_delay_alu instid0(VALU_DEP_1) | instskip(SKIP_1) | instid1(TRANS32_DEP_1)
	v_rcp_iflag_f32_e32 v1, v1
	v_nop
	v_mul_f32_e32 v1, 0x4f7ffffe, v1
	s_delay_alu instid0(VALU_DEP_1) | instskip(NEXT) | instid1(VALU_DEP_1)
	v_cvt_u32_f32_e32 v1, v1
	v_readfirstlane_b32 s11, v1
	s_mul_i32 s14, s14, s11
	s_delay_alu instid0(SALU_CYCLE_1) | instskip(NEXT) | instid1(SALU_CYCLE_1)
	s_mul_hi_u32 s14, s11, s14
	s_add_co_i32 s11, s11, s14
	s_delay_alu instid0(SALU_CYCLE_1) | instskip(NEXT) | instid1(SALU_CYCLE_1)
	s_mul_hi_u32 s11, s10, s11
	s_mul_i32 s11, s11, s16
	s_delay_alu instid0(SALU_CYCLE_1) | instskip(NEXT) | instid1(SALU_CYCLE_1)
	s_sub_co_i32 s11, s10, s11
	s_sub_co_i32 s14, s11, s16
	s_cmp_ge_u32 s11, s16
	s_cselect_b32 s11, s14, s11
	s_delay_alu instid0(SALU_CYCLE_1)
	s_sub_co_i32 s14, s11, s16
	s_cmp_ge_u32 s11, s16
	s_cselect_b32 s14, s14, s11
.LBB23_6:
	s_clause 0x1
	s_load_b64 s[34:35], s[0:1], 0x30
	s_load_b64 s[16:17], s[0:1], 0xa0
	v_mov_b32_e32 v1, 1.0
	s_wait_kmcnt 0x0
	s_cmp_le_f32 s3, 0
	s_add_nc_u64 s[18:19], s[0:1], 0xa0
	s_cbranch_scc1 .LBB23_8
; %bb.7:
	s_clause 0x1
	s_load_b32 s3, s[0:1], 0x28
	s_load_b64 s[20:21], s[0:1], 0x98
	s_add_co_i32 s22, s28, 1
	s_wait_kmcnt 0x0
	s_sub_co_i32 s11, s28, s3
	s_delay_alu instid0(SALU_CYCLE_1) | instskip(NEXT) | instid1(SALU_CYCLE_1)
	s_lshl_b32 s11, s11, 1
	s_or_b32 s11, s11, 1
	s_cmp_lt_u32 s28, s3
	s_cselect_b32 s3, s22, s11
	s_cselect_b32 s20, s20, s21
	s_cvt_f32_i32 s3, s3
	s_cmp_neq_f32 s20, 1.0
	s_delay_alu instid0(SALU_CYCLE_2) | instskip(NEXT) | instid1(SALU_CYCLE_1)
	s_cselect_b32 s11, s3, 1.0
	s_cmp_neq_f32 s11, 0
	s_cselect_b32 s3, s20, 1.0
	s_delay_alu instid0(SALU_CYCLE_1) | instskip(NEXT) | instid1(VALU_DEP_1)
	v_cvt_f64_f32_e64 v[2:3], |s3|
	v_frexp_exp_i32_f64_e32 v1, v[2:3]
	v_frexp_mant_f32_e64 v2, |s3|
	s_delay_alu instid0(VALU_DEP_1) | instskip(SKIP_2) | instid1(SALU_CYCLE_1)
	v_readfirstlane_b32 s20, v2
	s_cmp_lt_f32 s20, 0x3f2aaaab
	s_cselect_b32 vcc_lo, -1, 0
	s_and_b32 s21, vcc_lo, exec_lo
	s_cselect_b32 s21, 2.0, 1.0
	s_delay_alu instid0(SALU_CYCLE_1) | instskip(NEXT) | instid1(SALU_CYCLE_3)
	s_mul_f32 s20, s20, s21
	s_add_f32 s21, s20, 1.0
	s_add_f32 s23, s20, -1.0
	s_delay_alu instid0(SALU_CYCLE_2) | instskip(SKIP_2) | instid1(SALU_CYCLE_2)
	v_s_rcp_f32 s22, s21
	s_add_f32 s26, s21, -1.0
	v_subrev_co_ci_u32_e64 v1, null, 0, v1, vcc_lo
	s_sub_f32 s20, s20, s26
	s_delay_alu instid0(TRANS32_DEP_1) | instskip(SKIP_1) | instid1(SALU_CYCLE_2)
	s_mul_f32 s24, s23, s22
	v_cvt_f32_i32_e32 v1, v1
	s_mul_f32 s25, s21, s24
	s_delay_alu instid0(SALU_CYCLE_3) | instskip(SKIP_1) | instid1(SALU_CYCLE_1)
	v_dual_mov_b32 v3, s23 :: v_dual_mov_b32 v4, s25
	s_xor_b32 s27, s25, 0x80000000
	s_fmac_f32 s27, s24, s21
	s_delay_alu instid0(SALU_CYCLE_3) | instskip(NEXT) | instid1(SALU_CYCLE_3)
	s_fmac_f32 s27, s24, s20
	s_add_f32 s20, s25, s27
	v_mov_b32_e32 v6, s27
	s_mov_b32 s25, 0x3e76c4e1
	s_delay_alu instid0(SALU_CYCLE_1) | instskip(SKIP_1) | instid1(SALU_CYCLE_2)
	s_sub_f32 s21, s23, s20
	v_dual_mov_b32 v2, s20 :: v_dual_mov_b32 v7, s20
	v_mov_b32_e32 v5, s21
	s_delay_alu instid0(VALU_DEP_1) | instskip(NEXT) | instid1(VALU_DEP_1)
	v_pk_add_f32 v[2:3], v[2:3], v[4:5] neg_lo:[0,1] neg_hi:[0,1]
	v_pk_add_f32 v[2:3], v[2:3], v[6:7] neg_lo:[0,1] neg_hi:[0,1]
	s_delay_alu instid0(VALU_DEP_1) | instskip(NEXT) | instid1(VALU_DEP_2)
	v_readfirstlane_b32 s20, v3
	v_readfirstlane_b32 s23, v2
	s_add_f32 s20, s23, s20
	s_delay_alu instid0(SALU_CYCLE_3) | instskip(NEXT) | instid1(SALU_CYCLE_3)
	s_add_f32 s20, s21, s20
	s_mul_f32 s21, s22, s20
	s_delay_alu instid0(SALU_CYCLE_3) | instskip(NEXT) | instid1(SALU_CYCLE_3)
	s_add_f32 s20, s24, s21
	s_sub_f32 s22, s20, s24
	s_mul_f32 s23, s20, s20
	s_delay_alu instid0(SALU_CYCLE_2) | instskip(NEXT) | instid1(SALU_CYCLE_2)
	s_sub_f32 s24, s21, s22
	s_xor_b32 s21, s23, 0x80000000
	s_delay_alu instid0(SALU_CYCLE_1) | instskip(NEXT) | instid1(SALU_CYCLE_1)
	s_fmac_f32 s21, s20, s20
	s_add_f32 s22, s24, s24
	s_delay_alu instid0(SALU_CYCLE_3) | instskip(NEXT) | instid1(SALU_CYCLE_3)
	s_fmac_f32 s21, s20, s22
	s_add_f32 s22, s23, s21
	s_delay_alu instid0(SALU_CYCLE_3) | instskip(SKIP_1) | instid1(SALU_CYCLE_2)
	s_fmaak_f32 s25, s22, s25, 0x3e91f4c4
	s_sub_f32 s23, s22, s23
	s_fmaak_f32 s25, s22, s25, 0x3ecccdef
	s_delay_alu instid0(SALU_CYCLE_2) | instskip(NEXT) | instid1(SALU_CYCLE_2)
	s_sub_f32 s29, s21, s23
	s_mul_f32 s26, s22, s25
	s_delay_alu instid0(SALU_CYCLE_3) | instskip(NEXT) | instid1(SALU_CYCLE_1)
	s_xor_b32 s27, s26, 0x80000000
	s_fmac_f32 s27, s22, s25
	s_delay_alu instid0(SALU_CYCLE_3) | instskip(NEXT) | instid1(SALU_CYCLE_3)
	s_fmac_f32 s27, s29, s25
	s_add_f32 s23, s26, s27
	s_delay_alu instid0(SALU_CYCLE_3) | instskip(SKIP_1) | instid1(SALU_CYCLE_2)
	s_sub_f32 s21, s23, s26
	s_add_f32 s25, s23, 0x3f2aaaaa
	s_sub_f32 s21, s27, s21
	s_delay_alu instid0(SALU_CYCLE_2) | instskip(NEXT) | instid1(SALU_CYCLE_2)
	s_add_f32 s26, s25, 0xbf2aaaaa
	s_add_f32 s21, s21, 0x31739010
	s_delay_alu instid0(SALU_CYCLE_2) | instskip(NEXT) | instid1(SALU_CYCLE_2)
	s_sub_f32 s23, s23, s26
	v_mov_b64_e32 v[2:3], s[20:21]
	s_delay_alu instid0(SALU_CYCLE_2) | instskip(NEXT) | instid1(VALU_DEP_1)
	v_mov_b64_e32 v[4:5], s[22:23]
	v_pk_mul_f32 v[6:7], v[2:3], v[4:5]
	v_pk_add_f32 v[2:3], v[2:3], v[4:5]
	v_mov_b32_e32 v9, s25
	s_delay_alu instid0(VALU_DEP_3) | instskip(NEXT) | instid1(VALU_DEP_3)
	v_xor_b32_e32 v8, 0x80000000, v6
	v_mov_b32_e32 v7, v3
	s_delay_alu instid0(VALU_DEP_2) | instskip(NEXT) | instid1(VALU_DEP_1)
	v_fmac_f32_e64 v8, s22, s20
	v_fmac_f32_e64 v8, s22, s24
	s_delay_alu instid0(VALU_DEP_1) | instskip(NEXT) | instid1(VALU_DEP_1)
	v_fmac_f32_e64 v8, s29, s20
	v_pk_add_f32 v[4:5], v[6:7], v[8:9]
	s_delay_alu instid0(VALU_DEP_1) | instskip(SKIP_1) | instid1(VALU_DEP_2)
	v_dual_mov_b32 v2, v5 :: v_dual_sub_f32 v7, s25, v5
	v_mul_f32_e32 v12, 0x3f317218, v1
	v_pk_mul_f32 v[10:11], v[4:5], v[2:3]
	s_delay_alu instid0(VALU_DEP_3) | instskip(NEXT) | instid1(VALU_DEP_3)
	v_add_f32_e32 v3, v3, v7
	v_xor_b32_e32 v7, 0x80000000, v12
	s_delay_alu instid0(VALU_DEP_3) | instskip(NEXT) | instid1(VALU_DEP_2)
	v_xor_b32_e32 v2, 0x80000000, v10
	v_dual_sub_f32 v6, v4, v6 :: v_dual_fmac_f32 v7, 0x3f317218, v1
	s_delay_alu instid0(VALU_DEP_2) | instskip(NEXT) | instid1(VALU_DEP_2)
	v_fmac_f32_e32 v2, v4, v5
	v_sub_f32_e32 v6, v8, v6
	s_delay_alu instid0(VALU_DEP_2) | instskip(NEXT) | instid1(VALU_DEP_1)
	v_fmac_f32_e32 v2, v4, v3
	v_fmac_f32_e32 v2, v6, v5
	v_fmamk_f32 v4, v1, 0xb102e308, v7
	v_ldexp_f32 v5, s20, 1
	v_ldexp_f32 v1, s24, 1
	s_delay_alu instid0(VALU_DEP_2) | instskip(NEXT) | instid1(VALU_DEP_1)
	v_dual_add_f32 v13, v10, v2 :: v_dual_mov_b32 v11, v5
	v_pk_add_f32 v[6:7], v[12:13], v[4:5]
	v_dual_mov_b32 v8, v13 :: v_dual_mov_b32 v3, v13
	s_delay_alu instid0(VALU_DEP_2) | instskip(SKIP_1) | instid1(VALU_DEP_2)
	v_dual_mov_b32 v9, v7 :: v_dual_mov_b32 v5, v6
	v_mov_b32_e32 v14, v7
	v_pk_add_f32 v[8:9], v[8:9], v[10:11] neg_lo:[0,1] neg_hi:[0,1]
	s_delay_alu instid0(VALU_DEP_1) | instskip(NEXT) | instid1(VALU_DEP_1)
	v_pk_add_f32 v[2:3], v[2:3], v[8:9] neg_lo:[0,1] neg_hi:[0,1]
	v_add_f32_e32 v1, v1, v2
	s_delay_alu instid0(VALU_DEP_1) | instskip(NEXT) | instid1(VALU_DEP_1)
	v_add_f32_e32 v13, v1, v3
	v_pk_add_f32 v[2:3], v[6:7], v[12:13]
	v_pk_add_f32 v[8:9], v[6:7], v[12:13] neg_lo:[0,1] neg_hi:[0,1]
	s_delay_alu instid0(VALU_DEP_2) | instskip(NEXT) | instid1(VALU_DEP_1)
	v_mov_b32_e32 v9, v3
	v_pk_add_f32 v[10:11], v[4:5], v[8:9]
	v_pk_add_f32 v[4:5], v[4:5], v[8:9] neg_lo:[0,1] neg_hi:[0,1]
	v_dual_mov_b32 v16, v3 :: v_dual_mov_b32 v5, v6
	s_delay_alu instid0(VALU_DEP_3) | instskip(NEXT) | instid1(VALU_DEP_3)
	v_dual_mov_b32 v12, v11 :: v_dual_mov_b32 v17, v11
	v_readfirstlane_b32 s20, v4
	s_delay_alu instid0(VALU_DEP_2) | instskip(NEXT) | instid1(VALU_DEP_2)
	v_pk_add_f32 v[8:9], v[12:13], v[6:7] neg_lo:[0,1] neg_hi:[0,1]
	v_dual_mov_b32 v4, v13 :: v_dual_mov_b32 v10, s20
	s_delay_alu instid0(VALU_DEP_2) | instskip(NEXT) | instid1(VALU_DEP_1)
	v_dual_mov_b32 v15, v8 :: v_dual_mov_b32 v1, v8
	v_pk_add_f32 v[6:7], v[16:17], v[14:15] neg_lo:[0,1] neg_hi:[0,1]
	s_delay_alu instid0(VALU_DEP_2) | instskip(SKIP_1) | instid1(VALU_DEP_3)
	v_pk_add_f32 v[2:3], v[2:3], v[0:1] neg_lo:[0,1] neg_hi:[0,1]
	v_mov_b32_e32 v2, s20
	v_pk_add_f32 v[4:5], v[4:5], v[6:7] neg_lo:[0,1] neg_hi:[0,1]
	s_delay_alu instid0(VALU_DEP_1) | instskip(NEXT) | instid1(VALU_DEP_1)
	v_pk_add_f32 v[2:3], v[2:3], v[4:5]
	v_readfirstlane_b32 s21, v2
	s_delay_alu instid0(VALU_DEP_2) | instskip(NEXT) | instid1(VALU_DEP_1)
	v_mov_b32_e32 v6, v3
	v_pk_add_f32 v[6:7], v[2:3], v[6:7]
	s_delay_alu instid0(VALU_DEP_3) | instskip(NEXT) | instid1(VALU_DEP_2)
	v_mov_b32_e32 v2, s21
	v_pk_add_f32 v[8:9], v[12:13], v[6:7]
	v_mov_b32_e32 v5, v6
	s_delay_alu instid0(VALU_DEP_2) | instskip(NEXT) | instid1(VALU_DEP_1)
	v_readfirstlane_b32 s22, v8
	v_mov_b32_e32 v3, s22
	s_delay_alu instid0(VALU_DEP_1) | instskip(NEXT) | instid1(VALU_DEP_1)
	v_pk_add_f32 v[2:3], v[2:3], v[10:11] neg_lo:[0,1] neg_hi:[0,1]
	v_readfirstlane_b32 s23, v2
	s_delay_alu instid0(VALU_DEP_2) | instskip(SKIP_1) | instid1(VALU_DEP_1)
	v_pk_add_f32 v[2:3], v[4:5], v[2:3] neg_lo:[0,1] neg_hi:[0,1]
	s_sub_f32 s21, s21, s23
	v_readfirstlane_b32 s23, v2
	s_delay_alu instid0(SALU_CYCLE_2) | instskip(SKIP_1) | instid1(SALU_CYCLE_2)
	s_sub_f32 s20, s20, s21
	v_readfirstlane_b32 s21, v3
	s_add_f32 s20, s23, s20
	s_delay_alu instid0(SALU_CYCLE_3) | instskip(NEXT) | instid1(SALU_CYCLE_3)
	s_add_f32 s20, s20, s21
	s_add_f32 s21, s22, s20
	s_delay_alu instid0(SALU_CYCLE_3) | instskip(SKIP_1) | instid1(SALU_CYCLE_2)
	s_mul_f32 s23, s11, s21
	s_sub_f32 s22, s21, s22
	s_xor_b32 s24, s23, 0x80000000
	s_delay_alu instid0(SALU_CYCLE_2) | instskip(SKIP_1) | instid1(SALU_CYCLE_3)
	s_sub_f32 s20, s20, s22
	s_fmac_f32 s24, s11, s21
	s_fmac_f32 s24, s11, s20
	v_cmp_class_f32_e64 s20, s23, 0x204
	s_delay_alu instid0(SALU_CYCLE_2) | instskip(SKIP_1) | instid1(SALU_CYCLE_2)
	s_add_f32 s21, s23, s24
	s_and_b32 s20, s20, exec_lo
	s_sub_f32 s20, s21, s23
	s_cselect_b32 s21, s23, s21
	s_delay_alu instid0(SALU_CYCLE_1) | instskip(NEXT) | instid1(SALU_CYCLE_1)
	s_and_b32 s22, s21, 0x7fffffff
	s_sub_f32 s20, s24, s20
	s_cmp_neq_f32 s22, 0x7f800000
	s_delay_alu instid0(SALU_CYCLE_2) | instskip(SKIP_2) | instid1(SALU_CYCLE_1)
	s_cselect_b32 s20, s20, 0
	s_cmp_eq_f32 s21, 0x42b17218
	s_cselect_b32 s22, 0x37000000, 0
	s_sub_f32 s21, s21, s22
	s_add_f32 s20, s22, s20
	s_delay_alu instid0(SALU_CYCLE_2) | instskip(NEXT) | instid1(SALU_CYCLE_3)
	s_mul_f32 s23, s21, 0x3fb8aa3b
	s_xor_b32 s24, s23, 0x80000000
	s_rndne_f32 s25, s23
	s_fmamk_f32 s24, s21, 0x3fb8aa3b, s24
	s_cmp_nlt_f32 s21, 0xc2ce8ed0
	s_delay_alu instid0(SALU_CYCLE_1) | instskip(NEXT) | instid1(SALU_CYCLE_1)
	s_sub_f32 s23, s23, s25
	s_fmamk_f32 s24, s21, 0x32a5705f, s24
	s_cselect_b32 vcc_lo, -1, 0
	s_cmp_ngt_f32 s21, 0x42b17218
	s_trunc_f32 s21, s11
	s_add_f32 s23, s23, s24
	s_cvt_i32_f32 s24, s25
	s_delay_alu instid0(SALU_CYCLE_2)
	v_s_exp_f32 s23, s23
	v_nop
	s_delay_alu instid0(TRANS32_DEP_1) | instid1(SALU_CYCLE_1)
	v_ldexp_f32 v1, s23, s24
	s_mul_f32 s23, s11, 0.5
	s_delay_alu instid0(VALU_DEP_1) | instskip(SKIP_3) | instid1(VALU_DEP_1)
	v_cndmask_b32_e32 v1, 0, v1, vcc_lo
	s_cselect_b32 vcc_lo, -1, 0
	s_cmp_eq_f32 s21, s11
	s_trunc_f32 s24, s23
	v_cndmask_b32_e32 v1, 0x7f800000, v1, vcc_lo
	s_cselect_b32 s25, -1, 0
	s_delay_alu instid0(SALU_CYCLE_1) | instskip(NEXT) | instid1(VALU_DEP_1)
	s_cmp_neq_f32 s24, s23
	v_fma_f32 v2, s20, v1, v1
	v_cmp_class_f32_e64 vcc_lo, v1, 0x204
	s_cselect_b32 s22, -1, 0
	s_delay_alu instid0(SALU_CYCLE_1)
	s_and_b32 s20, s25, s22
	v_cndmask_b32_e32 v1, v2, v1, vcc_lo
	s_and_b32 s22, s20, exec_lo
	s_cselect_b32 s22, s3, 1.0
	s_cmp_eq_f32 s21, s11
	v_cmp_class_f32_e64 s21, s3, 0x204
	v_bfi_b32 v1, 0x7fffffff, v1, s22
	s_cselect_b32 vcc_lo, -1, 0
	s_cmp_lt_f32 s3, 0
	s_delay_alu instid0(VALU_DEP_1) | instskip(SKIP_2) | instid1(VALU_DEP_1)
	v_cndmask_b32_e32 v2, 0x7fc00000, v1, vcc_lo
	s_cselect_b32 vcc_lo, -1, 0
	s_cmp_eq_f32 s3, 0
	v_cndmask_b32_e32 v1, v1, v2, vcc_lo
	s_cselect_b32 s22, -1, 0
	s_delay_alu instid0(SALU_CYCLE_1) | instskip(SKIP_2) | instid1(SALU_CYCLE_1)
	s_or_b32 vcc_lo, s22, s21
	s_cmp_lt_f32 s11, 0
	s_cselect_b32 s11, -1, 0
	s_xor_b32 s11, s11, s22
	s_delay_alu instid0(SALU_CYCLE_1)
	s_and_b32 s11, s11, exec_lo
	s_cselect_b32 s11, 0, 0x7f800000
	s_and_b32 s20, s20, exec_lo
	s_cselect_b32 s20, s3, 0
	s_cmp_o_f32 s3, s3
	v_mov_b32_e32 v2, s20
	s_delay_alu instid0(VALU_DEP_1) | instskip(NEXT) | instid1(VALU_DEP_1)
	v_bfi_b32 v2, 0x7fffffff, s11, v2
	v_cndmask_b32_e32 v1, v1, v2, vcc_lo
	s_cselect_b32 vcc_lo, -1, 0
	s_delay_alu instid0(VALU_DEP_1)
	v_cndmask_b32_e32 v1, 0x7fc00000, v1, vcc_lo
.LBB23_8:
	s_load_b256 s[20:27], s[0:1], 0x0
	s_load_b32 s3, s[18:19], 0xc
	s_wait_kmcnt 0x0
	s_cmp_lg_u64 s[24:25], 0
	s_cselect_b32 s29, -1, 0
	s_cmp_eq_u64 s[24:25], 0
	s_cbranch_scc1 .LBB23_12
; %bb.9:
	s_load_b32 s0, s[24:25], s28 offset:0x0 scale_offset
	s_branch .LBB23_13
.LBB23_10:
                                        ; implicit-def: $sgpr12_sgpr13
	s_branch .LBB23_2
.LBB23_11:
                                        ; implicit-def: $sgpr14_sgpr15
	s_branch .LBB23_5
.LBB23_12:
	s_mov_b32 s0, 0xff800000
.LBB23_13:
	s_bfe_u32 s1, ttmp6, 0x4000c
	s_and_b32 s11, ttmp6, 15
	s_add_co_i32 s1, s1, 1
	s_wait_kmcnt 0x0
	v_mov_b32_e32 v4, s0
	s_mul_i32 s1, ttmp9, s1
	s_delay_alu instid0(SALU_CYCLE_1)
	s_add_co_i32 s11, s11, s1
	s_cmp_eq_u32 s30, 0
	s_mul_i32 s1, s17, s10
	s_cselect_b32 s10, ttmp9, s11
	s_add_co_i32 s1, s1, s28
	s_bfe_i64 s[36:37], s[34:35], 0x200000
	s_mul_i32 s1, s1, s16
	s_and_b32 s17, 0xffff, s3
	s_add_co_i32 s38, s1, s10
	s_mov_b32 s11, 0
	s_ashr_i32 s39, s38, 31
	s_cmp_gt_i32 s34, 0
	s_cselect_b32 s35, -1, 0
	s_cmp_lt_i32 s34, 1
	s_cbranch_scc1 .LBB23_21
; %bb.14:
	s_mul_u64 s[4:5], s[4:5], s[10:11]
	s_mul_u64 s[6:7], s[12:13], s[6:7]
	;; [unrolled: 1-line block ×3, first 2 shown]
	s_add_nc_u64 s[4:5], s[6:7], s[4:5]
	s_mul_u64 s[6:7], s[38:39], s[36:37]
	s_add_nc_u64 s[4:5], s[4:5], s[8:9]
	v_dual_mov_b32 v3, 0 :: v_dual_lshlrev_b32 v2, 2, v0
	s_lshr_b64 s[4:5], s[4:5], 2
	s_cmp_lg_u64 s[22:23], 0
	v_mov_b32_e32 v4, s0
	s_cselect_b32 s1, -1, 0
	s_mov_b32 s3, s11
	v_cndmask_b32_e64 v5, 0, 1, s1
	s_and_b32 s1, s1, exec_lo
	s_cselect_b32 s5, s5, 0
	s_cselect_b32 s4, s4, 0
	s_lshl_b64 s[8:9], s[6:7], 2
	s_lshl_b64 s[6:7], s[4:5], 2
	s_add_nc_u64 s[4:5], s[20:21], s[8:9]
	s_add_nc_u64 s[6:7], s[22:23], s[6:7]
	s_lshl_b32 s10, s17, 2
	s_add_nc_u64 s[8:9], s[26:27], s[8:9]
	s_mov_b32 s1, s11
	s_branch .LBB23_17
.LBB23_15:                              ;   in Loop: Header=BB23_17 Depth=1
	s_wait_loadcnt 0x0
	s_delay_alu instid0(VALU_DEP_1) | instskip(SKIP_2) | instid1(VALU_DEP_2)
	v_dual_fmac_f32 v7, s2, v6 :: v_dual_max_num_f32 v4, v4, v4
	s_wait_xcnt 0x0
	v_add_nc_u64_e32 v[8:9], s[8:9], v[2:3]
	v_max_num_f32_e32 v4, v4, v7
	global_store_b32 v[8:9], v7, off
.LBB23_16:                              ;   in Loop: Header=BB23_17 Depth=1
	s_wait_xcnt 0x0
	s_or_b32 exec_lo, exec_lo, s12
	s_add_co_i32 s3, s3, s17
	v_add_nc_u64_e32 v[2:3], s[10:11], v[2:3]
	s_cmp_ge_i32 s3, s34
	s_cselect_b32 s12, -1, 0
	s_xor_b32 s0, s0, -1
	s_delay_alu instid0(SALU_CYCLE_1) | instskip(NEXT) | instid1(SALU_CYCLE_1)
	s_or_b32 s0, s0, s12
	s_and_b32 s0, exec_lo, s0
	s_delay_alu instid0(SALU_CYCLE_1) | instskip(NEXT) | instid1(SALU_CYCLE_1)
	s_or_b32 s1, s0, s1
	s_and_not1_b32 exec_lo, exec_lo, s1
	s_cbranch_execz .LBB23_20
.LBB23_17:                              ; =>This Inner Loop Header: Depth=1
	v_add_nc_u32_e32 v6, s3, v0
	s_delay_alu instid0(VALU_DEP_1)
	v_cmp_gt_i32_e64 s0, s34, v6
	s_and_saveexec_b32 s12, s0
	s_cbranch_execz .LBB23_16
; %bb.18:                               ;   in Loop: Header=BB23_17 Depth=1
	v_add_nc_u64_e32 v[6:7], s[4:5], v[2:3]
	v_cmp_ne_u32_e32 vcc_lo, 1, v5
	global_load_b32 v6, v[6:7], off
	s_wait_xcnt 0x0
	v_mov_b32_e32 v7, 0
	s_cbranch_vccnz .LBB23_15
; %bb.19:                               ;   in Loop: Header=BB23_17 Depth=1
	v_add_nc_u64_e32 v[8:9], s[6:7], v[2:3]
	global_load_b32 v7, v[8:9], off
	s_wait_loadcnt 0x0
	v_mul_f32_e32 v7, v1, v7
	s_branch .LBB23_15
.LBB23_20:
	s_or_b32 exec_lo, exec_lo, s1
.LBB23_21:
	v_mbcnt_lo_u32_b32 v1, -1, 0
	s_cmp_gt_u32 s17, 32
	s_mov_b32 s20, 0
	s_cselect_b32 s21, -1, 0
	s_cmp_lt_u32 s17, 33
	v_xor_b32_e32 v2, 16, v1
	s_mov_b32 s22, -1
	v_xor_b32_e32 v3, 8, v1
	s_delay_alu instid0(VALU_DEP_2) | instskip(SKIP_1) | instid1(VALU_DEP_3)
	v_cmp_gt_i32_e32 vcc_lo, 32, v2
	v_cndmask_b32_e32 v2, v1, v2, vcc_lo
	v_cmp_gt_i32_e32 vcc_lo, 32, v3
	s_delay_alu instid0(VALU_DEP_2) | instskip(SKIP_4) | instid1(VALU_DEP_1)
	v_dual_lshlrev_b32 v41, 2, v2 :: v_dual_cndmask_b32 v3, v1, v3, vcc_lo
	ds_bpermute_b32 v2, v41, v4
	v_dual_max_num_f32 v4, v4, v4 :: v_dual_lshlrev_b32 v42, 2, v3
	s_wait_dscnt 0x0
	v_max_num_f32_e32 v2, v2, v2
	v_dual_max_num_f32 v2, v4, v2 :: v_dual_bitop2_b32 v4, 4, v1 bitop3:0x14
	ds_bpermute_b32 v3, v42, v2
	v_cmp_gt_i32_e32 vcc_lo, 32, v4
	s_wait_dscnt 0x0
	v_dual_cndmask_b32 v4, v1, v4 :: v_dual_max_num_f32 v3, v3, v3
	s_delay_alu instid0(VALU_DEP_1) | instskip(SKIP_3) | instid1(VALU_DEP_1)
	v_dual_max_num_f32 v2, v2, v3 :: v_dual_lshlrev_b32 v43, 2, v4
	ds_bpermute_b32 v3, v43, v2
	s_wait_dscnt 0x0
	v_dual_max_num_f32 v3, v3, v3 :: v_dual_bitop2_b32 v4, 2, v1 bitop3:0x14
	v_cmp_gt_i32_e32 vcc_lo, 32, v4
	s_delay_alu instid0(VALU_DEP_2) | instskip(NEXT) | instid1(VALU_DEP_1)
	v_dual_max_num_f32 v2, v2, v3 :: v_dual_cndmask_b32 v4, v1, v4, vcc_lo
	v_dual_lshlrev_b32 v44, 2, v4 :: v_dual_bitop2_b32 v4, 1, v1 bitop3:0x14
	ds_bpermute_b32 v3, v44, v2
	v_cmp_gt_i32_e32 vcc_lo, 32, v4
	v_cndmask_b32_e32 v1, v1, v4, vcc_lo
	s_wait_dscnt 0x0
	s_delay_alu instid0(VALU_DEP_1) | instskip(NEXT) | instid1(VALU_DEP_1)
	v_dual_lshlrev_b32 v45, 2, v1 :: v_dual_max_num_f32 v3, v3, v3
	v_max_num_f32_e32 v2, v2, v3
	ds_bpermute_b32 v1, v45, v2
	s_wait_dscnt 0x0
	v_max_num_f32_e32 v1, v1, v1
	s_delay_alu instid0(VALU_DEP_1)
	v_max_num_f32_e32 v46, v2, v1
	s_cbranch_scc1 .LBB23_30
; %bb.22:
	s_cmp_gt_u32 s17, 0x400
	s_mov_b32 s22, 0
	s_cselect_b32 s0, -1, 0
	s_and_b32 s1, s17, 31
	s_delay_alu instid0(SALU_CYCLE_1) | instskip(SKIP_1) | instid1(SALU_CYCLE_1)
	s_cmp_lg_u32 s1, 0
	s_cselect_b32 s1, -1, 0
	s_or_b32 s1, s0, s1
	s_mov_b32 s0, -1
	s_and_b32 vcc_lo, exec_lo, s1
	s_mov_b32 s1, 0
	s_cbranch_vccnz .LBB23_33
; %bb.23:
	s_and_not1_b32 vcc_lo, exec_lo, s0
	s_cbranch_vccz .LBB23_34
.LBB23_24:
	s_and_b32 vcc_lo, exec_lo, s22
	s_cbranch_vccz .LBB23_31
.LBB23_25:
	s_and_not1_b32 vcc_lo, exec_lo, s35
	s_cbranch_vccnz .LBB23_39
; %bb.26:
	s_mul_u64 s[2:3], s[38:39], s[36:37]
	v_dual_mov_b32 v3, 0 :: v_dual_lshlrev_b32 v2, 2, v0
	s_lshl_b64 s[2:3], s[2:3], 2
	s_delay_alu instid0(SALU_CYCLE_1)
	s_add_nc_u64 s[2:3], s[26:27], s[2:3]
	s_delay_alu instid0(VALU_DEP_1) | instid1(SALU_CYCLE_1)
	v_add_nc_u64_e32 v[4:5], s[2:3], v[2:3]
	s_mov_b32 s3, 0
	s_lshl_b32 s2, s17, 2
	s_mov_b32 s4, s3
	s_mov_b32 s5, s3
	s_branch .LBB23_28
.LBB23_27:                              ;   in Loop: Header=BB23_28 Depth=1
	s_wait_xcnt 0x0
	s_or_b32 exec_lo, exec_lo, s6
	s_add_co_i32 s5, s5, s17
	v_add_nc_u64_e32 v[4:5], s[2:3], v[4:5]
	s_cmp_ge_i32 s5, s34
	s_cselect_b32 s0, -1, 0
	s_xor_b32 s6, vcc_lo, -1
	s_delay_alu instid0(SALU_CYCLE_1) | instskip(NEXT) | instid1(SALU_CYCLE_1)
	s_or_b32 s0, s6, s0
	s_and_b32 s0, exec_lo, s0
	s_delay_alu instid0(SALU_CYCLE_1) | instskip(NEXT) | instid1(SALU_CYCLE_1)
	s_or_b32 s4, s0, s4
	s_and_not1_b32 exec_lo, exec_lo, s4
	s_cbranch_execz .LBB23_32
.LBB23_28:                              ; =>This Inner Loop Header: Depth=1
	v_add_nc_u32_e32 v1, s5, v0
	s_delay_alu instid0(VALU_DEP_1)
	v_cmp_gt_i32_e32 vcc_lo, s34, v1
	s_and_saveexec_b32 s6, vcc_lo
	s_cbranch_execz .LBB23_27
; %bb.29:                               ;   in Loop: Header=BB23_28 Depth=1
	global_load_b32 v1, v[4:5], off
	s_wait_loadcnt 0x0
	v_sub_f32_e32 v1, v1, v46
	s_delay_alu instid0(VALU_DEP_1) | instskip(NEXT) | instid1(VALU_DEP_1)
	v_mul_f32_e32 v2, 0x3fb8aa3b, v1
	v_fma_f32 v6, 0x3fb8aa3b, v1, -v2
	v_rndne_f32_e32 v7, v2
	s_delay_alu instid0(VALU_DEP_1) | instskip(NEXT) | instid1(VALU_DEP_3)
	v_sub_f32_e32 v2, v2, v7
	v_fmac_f32_e32 v6, 0x32a5705f, v1
	v_cmp_ngt_f32_e64 s0, 0xc2ce8ed0, v1
	s_delay_alu instid0(VALU_DEP_2) | instskip(SKIP_1) | instid1(VALU_DEP_2)
	v_add_f32_e32 v2, v2, v6
	v_cvt_i32_f32_e32 v6, v7
	v_exp_f32_e32 v2, v2
	v_nop
	s_delay_alu instid0(TRANS32_DEP_1) | instskip(NEXT) | instid1(VALU_DEP_1)
	v_ldexp_f32 v2, v2, v6
	v_cndmask_b32_e64 v2, 0, v2, s0
	v_cmp_nlt_f32_e64 s0, 0x42b17218, v1
	s_delay_alu instid0(VALU_DEP_1) | instskip(NEXT) | instid1(VALU_DEP_1)
	v_cndmask_b32_e64 v1, 0x7f800000, v2, s0
	v_add_f32_e32 v3, v3, v1
	global_store_b32 v[4:5], v1, off
	s_branch .LBB23_27
.LBB23_30:
	s_mov_b32 s1, 0
	s_and_b32 vcc_lo, exec_lo, s22
	s_cbranch_vccnz .LBB23_25
.LBB23_31:
	s_mov_b32 s0, 0
                                        ; implicit-def: $vgpr1
	s_and_b32 vcc_lo, exec_lo, s1
	s_cbranch_vccnz .LBB23_45
	s_branch .LBB23_46
.LBB23_32:
	s_or_b32 exec_lo, exec_lo, s4
	s_branch .LBB23_40
.LBB23_33:
	s_get_pc_i64 s[0:1]
	s_add_nc_u64 s[0:1], s[0:1], .str.2@rel64+4
	s_get_pc_i64 s[2:3]
	s_add_nc_u64 s[2:3], s[2:3], .str.3@rel64+4
	s_get_pc_i64 s[4:5]
	s_add_nc_u64 s[4:5], s[4:5], __PRETTY_FUNCTION__._ZL12block_reduceIL19block_reduce_method0ELj0EfET1_S1_PS1_@rel64+4
	v_dual_mov_b32 v47, v0 :: v_dual_mov_b32 v0, s0
	v_dual_mov_b32 v1, s1 :: v_dual_mov_b32 v2, s2
	;; [unrolled: 1-line block ×4, first 2 shown]
	s_get_pc_i64 s[6:7]
	s_add_nc_u64 s[6:7], s[6:7], __assert_fail@rel64+4
	s_mov_b64 s[8:9], s[18:19]
	s_swap_pc_i64 s[30:31], s[6:7]
	v_mov_b32_e32 v0, v47
	s_mov_b32 s1, -1
	s_cbranch_execnz .LBB23_24
.LBB23_34:
	s_delay_alu instid0(VALU_DEP_1) | instskip(SKIP_1) | instid1(VALU_DEP_1)
	v_and_b32_e32 v1, 31, v0
	s_mov_b32 s0, exec_lo
	v_cmpx_eq_u32_e32 0, v1
; %bb.35:
	v_lshrrev_b32_e32 v2, 3, v0
	s_delay_alu instid0(VALU_DEP_1)
	v_add_nc_u32_e32 v2, 0, v2
	ds_store_b32 v2, v46
; %bb.36:
	s_or_b32 exec_lo, exec_lo, s0
	s_lshr_b32 s0, s17, 5
	v_mov_b32_e32 v2, 0xff800000
	v_cmp_gt_u32_e32 vcc_lo, s0, v1
	s_wait_storecnt_dscnt 0x0
	s_barrier_signal -1
	s_barrier_wait -1
	s_and_saveexec_b32 s0, vcc_lo
; %bb.37:
	v_lshl_add_u32 v1, v1, 2, 0
	ds_load_b32 v2, v1
; %bb.38:
	s_or_b32 exec_lo, exec_lo, s0
	s_wait_dscnt 0x0
	ds_bpermute_b32 v1, v41, v2
	s_wait_dscnt 0x0
	v_dual_max_num_f32 v2, v2, v2 :: v_dual_max_num_f32 v1, v1, v1
	s_delay_alu instid0(VALU_DEP_1) | instskip(SKIP_3) | instid1(VALU_DEP_1)
	v_max_num_f32_e32 v1, v2, v1
	ds_bpermute_b32 v2, v42, v1
	s_wait_dscnt 0x0
	v_max_num_f32_e32 v2, v2, v2
	v_max_num_f32_e32 v1, v1, v2
	ds_bpermute_b32 v2, v43, v1
	s_wait_dscnt 0x0
	v_max_num_f32_e32 v2, v2, v2
	s_delay_alu instid0(VALU_DEP_1) | instskip(SKIP_3) | instid1(VALU_DEP_1)
	v_max_num_f32_e32 v1, v1, v2
	ds_bpermute_b32 v2, v44, v1
	s_wait_dscnt 0x0
	v_max_num_f32_e32 v2, v2, v2
	v_max_num_f32_e32 v1, v1, v2
	ds_bpermute_b32 v2, v45, v1
	s_wait_dscnt 0x0
	v_max_num_f32_e32 v2, v2, v2
	s_delay_alu instid0(VALU_DEP_1)
	v_max_num_f32_e32 v46, v1, v2
	s_cbranch_execnz .LBB23_25
	s_branch .LBB23_31
.LBB23_39:
	v_mov_b32_e32 v3, 0
.LBB23_40:
	ds_bpermute_b32 v1, v41, v3
	s_and_not1_b32 vcc_lo, exec_lo, s21
	s_wait_dscnt 0x0
	v_add_f32_e32 v1, v3, v1
	ds_bpermute_b32 v2, v42, v1
	s_wait_dscnt 0x0
	v_add_f32_e32 v1, v1, v2
	ds_bpermute_b32 v2, v43, v1
	;; [unrolled: 3-line block ×4, first 2 shown]
	s_cbranch_vccnz .LBB23_43
; %bb.41:
	s_cmp_gt_u32 s17, 0x400
	s_mov_b32 s20, 0
	s_cselect_b32 s0, -1, 0
	s_and_b32 s2, s17, 31
	s_delay_alu instid0(SALU_CYCLE_1) | instskip(SKIP_1) | instid1(SALU_CYCLE_1)
	s_cmp_lg_u32 s2, 0
	s_cselect_b32 s2, -1, 0
	s_or_b32 s0, s0, s2
	s_delay_alu instid0(SALU_CYCLE_1)
	s_and_b32 vcc_lo, exec_lo, s0
	s_mov_b32 s0, -1
	s_cbranch_vccz .LBB23_44
; %bb.42:
	s_get_pc_i64 s[0:1]
	s_add_nc_u64 s[0:1], s[0:1], .str.2@rel64+4
	s_get_pc_i64 s[2:3]
	s_add_nc_u64 s[2:3], s[2:3], .str.3@rel64+4
	s_get_pc_i64 s[4:5]
	s_add_nc_u64 s[4:5], s[4:5], __PRETTY_FUNCTION__._ZL12block_reduceIL19block_reduce_method1ELj0EfET1_S1_PS1_@rel64+4
	v_dual_mov_b32 v56, v0 :: v_dual_mov_b32 v0, s0
	v_dual_mov_b32 v1, s1 :: v_dual_mov_b32 v2, s2
	;; [unrolled: 1-line block ×4, first 2 shown]
	s_get_pc_i64 s[6:7]
	s_add_nc_u64 s[6:7], s[6:7], __assert_fail@rel64+4
	s_mov_b64 s[8:9], s[18:19]
	s_swap_pc_i64 s[30:31], s[6:7]
	v_mov_b32_e32 v0, v56
	s_mov_b32 s1, -1
	s_mov_b32 s0, 0
	s_branch .LBB23_44
.LBB23_43:
	s_mov_b32 s0, 0
	s_mov_b32 s20, -1
.LBB23_44:
	s_wait_dscnt 0x0
	v_add_f32_e32 v1, v47, v55
	s_and_b32 vcc_lo, exec_lo, s1
	s_cbranch_vccz .LBB23_46
.LBB23_45:
	; divergent unreachable
.LBB23_46:
	s_and_not1_b32 vcc_lo, exec_lo, s0
	s_cbranch_vccz .LBB23_48
; %bb.47:
	s_and_b32 vcc_lo, exec_lo, s20
	s_cbranch_vccnz .LBB23_53
	s_branch .LBB23_60
.LBB23_48:
	v_and_b32_e32 v2, 31, v0
	s_mov_b32 s0, exec_lo
	s_delay_alu instid0(VALU_DEP_1)
	v_cmpx_eq_u32_e32 0, v2
; %bb.49:
	v_lshrrev_b32_e32 v3, 3, v0
	s_delay_alu instid0(VALU_DEP_1)
	v_add_nc_u32_e32 v3, 0, v3
	ds_store_b32 v3, v1
; %bb.50:
	s_or_b32 exec_lo, exec_lo, s0
	s_lshr_b32 s0, s17, 5
	v_mov_b32_e32 v1, 0
	v_cmp_gt_u32_e32 vcc_lo, s0, v2
	s_wait_storecnt_dscnt 0x0
	s_barrier_signal -1
	s_barrier_wait -1
	s_and_saveexec_b32 s0, vcc_lo
; %bb.51:
	v_lshl_add_u32 v1, v2, 2, 0
	ds_load_b32 v1, v1
; %bb.52:
	s_or_b32 exec_lo, exec_lo, s0
	s_wait_dscnt 0x0
	ds_bpermute_b32 v2, v41, v1
	s_wait_dscnt 0x0
	v_add_f32_e32 v1, v1, v2
	ds_bpermute_b32 v2, v42, v1
	s_wait_dscnt 0x0
	v_add_f32_e32 v1, v1, v2
	;; [unrolled: 3-line block ×5, first 2 shown]
	s_cbranch_execz .LBB23_60
.LBB23_53:
	s_and_not1_b32 vcc_lo, exec_lo, s29
	s_cbranch_vccnz .LBB23_55
; %bb.54:
	v_mov_b32_e32 v2, s28
	global_load_b32 v2, v2, s[24:25] scale_offset
	s_wait_loadcnt 0x0
	v_sub_f32_e32 v2, v2, v46
	s_delay_alu instid0(VALU_DEP_1) | instskip(NEXT) | instid1(VALU_DEP_1)
	v_mul_f32_e32 v3, 0x3fb8aa3b, v2
	v_fma_f32 v4, 0x3fb8aa3b, v2, -v3
	v_rndne_f32_e32 v5, v3
	s_delay_alu instid0(VALU_DEP_1) | instskip(NEXT) | instid1(VALU_DEP_1)
	v_dual_fmamk_f32 v4, v2, 0x32a5705f, v4 :: v_dual_sub_f32 v3, v3, v5
	v_add_f32_e32 v3, v3, v4
	v_cvt_i32_f32_e32 v4, v5
	v_cmp_ngt_f32_e32 vcc_lo, 0xc2ce8ed0, v2
	s_delay_alu instid0(VALU_DEP_3) | instskip(SKIP_1) | instid1(TRANS32_DEP_1)
	v_exp_f32_e32 v3, v3
	v_nop
	v_ldexp_f32 v3, v3, v4
	s_delay_alu instid0(VALU_DEP_1) | instskip(SKIP_1) | instid1(VALU_DEP_2)
	v_cndmask_b32_e32 v3, 0, v3, vcc_lo
	v_cmp_nlt_f32_e32 vcc_lo, 0x42b17218, v2
	v_cndmask_b32_e32 v2, 0x7f800000, v3, vcc_lo
	s_delay_alu instid0(VALU_DEP_1)
	v_add_f32_e32 v1, v1, v2
.LBB23_55:
	s_and_not1_b32 vcc_lo, exec_lo, s35
	s_cbranch_vccnz .LBB23_60
; %bb.56:
	s_delay_alu instid0(VALU_DEP_1) | instskip(SKIP_4) | instid1(SALU_CYCLE_1)
	v_div_scale_f32 v3, null, v1, v1, 1.0
	v_div_scale_f32 v5, vcc_lo, 1.0, v1, 1.0
	s_mul_u64 s[0:1], s[38:39], s[36:37]
	v_rcp_f32_e32 v4, v3
	s_lshl_b64 s[0:1], s[0:1], 2
                                        ; implicit-def: $sgpr4
	s_add_nc_u64 s[0:1], s[26:27], s[0:1]
	v_nop
	s_delay_alu instid0(TRANS32_DEP_1) | instskip(NEXT) | instid1(VALU_DEP_1)
	v_fma_f32 v2, -v3, v4, 1.0
	v_fmac_f32_e32 v4, v2, v4
	s_delay_alu instid0(VALU_DEP_1) | instskip(NEXT) | instid1(VALU_DEP_1)
	v_mul_f32_e32 v6, v5, v4
	v_fma_f32 v2, -v3, v6, v5
	s_delay_alu instid0(VALU_DEP_1) | instskip(NEXT) | instid1(VALU_DEP_1)
	v_fmac_f32_e32 v6, v2, v4
	v_dual_lshlrev_b32 v2, 2, v0 :: v_dual_fma_f32 v5, -v3, v6, v5
	v_mov_b32_e32 v3, 0
	s_delay_alu instid0(VALU_DEP_2) | instskip(NEXT) | instid1(VALU_DEP_2)
	v_div_fmas_f32 v4, v5, v4, v6
	v_add_nc_u64_e32 v[2:3], s[0:1], v[2:3]
	s_mov_b32 s1, 0
	s_lshl_b32 s0, s17, 2
	s_mov_b32 s2, s1
	v_div_fixup_f32 v1, v4, v1, 1.0
	s_mov_b32 s3, s1
	s_branch .LBB23_58
.LBB23_57:                              ;   in Loop: Header=BB23_58 Depth=1
	s_or_b32 exec_lo, exec_lo, s5
	s_delay_alu instid0(SALU_CYCLE_1) | instskip(NEXT) | instid1(SALU_CYCLE_1)
	s_and_b32 s5, exec_lo, s4
	s_or_b32 s2, s5, s2
	s_delay_alu instid0(SALU_CYCLE_1)
	s_and_not1_b32 exec_lo, exec_lo, s2
	s_cbranch_execz .LBB23_60
.LBB23_58:                              ; =>This Inner Loop Header: Depth=1
	v_add_nc_u32_e32 v4, s3, v0
	s_or_b32 s4, s4, exec_lo
	s_mov_b32 s5, exec_lo
	s_delay_alu instid0(VALU_DEP_1)
	v_cmpx_gt_i32_e64 s34, v4
	s_cbranch_execz .LBB23_57
; %bb.59:                               ;   in Loop: Header=BB23_58 Depth=1
	global_load_b32 v4, v[2:3], off
	s_add_co_i32 s3, s3, s17
	s_delay_alu instid0(SALU_CYCLE_1) | instskip(SKIP_3) | instid1(SALU_CYCLE_1)
	s_cmp_ge_i32 s3, s34
	s_cselect_b32 s6, -1, 0
	s_and_not1_b32 s4, s4, exec_lo
	s_and_b32 s6, s6, exec_lo
	s_or_b32 s4, s4, s6
	s_wait_loadcnt 0x0
	v_mul_f32_e32 v4, v1, v4
	global_store_b32 v[2:3], v4, off
	s_wait_xcnt 0x0
	v_add_nc_u64_e32 v[2:3], s[0:1], v[2:3]
	s_branch .LBB23_57
.LBB23_60:
	s_endpgm
	.section	.rodata,"a",@progbits
	.p2align	6, 0x0
	.amdhsa_kernel _ZL12soft_max_f32ILb0ELi0ELi0EfEvPKfPKT2_S1_Pf15soft_max_params
		.amdhsa_group_segment_fixed_size 0
		.amdhsa_private_segment_fixed_size 64
		.amdhsa_kernarg_size 416
		.amdhsa_user_sgpr_count 2
		.amdhsa_user_sgpr_dispatch_ptr 0
		.amdhsa_user_sgpr_queue_ptr 0
		.amdhsa_user_sgpr_kernarg_segment_ptr 1
		.amdhsa_user_sgpr_dispatch_id 0
		.amdhsa_user_sgpr_kernarg_preload_length 0
		.amdhsa_user_sgpr_kernarg_preload_offset 0
		.amdhsa_user_sgpr_private_segment_size 0
		.amdhsa_wavefront_size32 1
		.amdhsa_uses_dynamic_stack 0
		.amdhsa_enable_private_segment 1
		.amdhsa_system_sgpr_workgroup_id_x 1
		.amdhsa_system_sgpr_workgroup_id_y 1
		.amdhsa_system_sgpr_workgroup_id_z 1
		.amdhsa_system_sgpr_workgroup_info 0
		.amdhsa_system_vgpr_workitem_id 0
		.amdhsa_next_free_vgpr 57
		.amdhsa_next_free_sgpr 40
		.amdhsa_named_barrier_count 0
		.amdhsa_reserve_vcc 1
		.amdhsa_float_round_mode_32 0
		.amdhsa_float_round_mode_16_64 0
		.amdhsa_float_denorm_mode_32 3
		.amdhsa_float_denorm_mode_16_64 3
		.amdhsa_fp16_overflow 0
		.amdhsa_memory_ordered 1
		.amdhsa_forward_progress 1
		.amdhsa_inst_pref_size 43
		.amdhsa_round_robin_scheduling 0
		.amdhsa_exception_fp_ieee_invalid_op 0
		.amdhsa_exception_fp_denorm_src 0
		.amdhsa_exception_fp_ieee_div_zero 0
		.amdhsa_exception_fp_ieee_overflow 0
		.amdhsa_exception_fp_ieee_underflow 0
		.amdhsa_exception_fp_ieee_inexact 0
		.amdhsa_exception_int_div_zero 0
	.end_amdhsa_kernel
	.section	.text._ZL12soft_max_f32ILb0ELi0ELi0EfEvPKfPKT2_S1_Pf15soft_max_params,"axG",@progbits,_ZL12soft_max_f32ILb0ELi0ELi0EfEvPKfPKT2_S1_Pf15soft_max_params,comdat
.Lfunc_end23:
	.size	_ZL12soft_max_f32ILb0ELi0ELi0EfEvPKfPKT2_S1_Pf15soft_max_params, .Lfunc_end23-_ZL12soft_max_f32ILb0ELi0ELi0EfEvPKfPKT2_S1_Pf15soft_max_params
                                        ; -- End function
	.set _ZL12soft_max_f32ILb0ELi0ELi0EfEvPKfPKT2_S1_Pf15soft_max_params.num_vgpr, max(57, .L__assert_fail.num_vgpr)
	.set _ZL12soft_max_f32ILb0ELi0ELi0EfEvPKfPKT2_S1_Pf15soft_max_params.num_agpr, max(0, .L__assert_fail.num_agpr)
	.set _ZL12soft_max_f32ILb0ELi0ELi0EfEvPKfPKT2_S1_Pf15soft_max_params.numbered_sgpr, max(40, .L__assert_fail.numbered_sgpr)
	.set _ZL12soft_max_f32ILb0ELi0ELi0EfEvPKfPKT2_S1_Pf15soft_max_params.num_named_barrier, max(0, .L__assert_fail.num_named_barrier)
	.set _ZL12soft_max_f32ILb0ELi0ELi0EfEvPKfPKT2_S1_Pf15soft_max_params.private_seg_size, 0+max(.L__assert_fail.private_seg_size)
	.set _ZL12soft_max_f32ILb0ELi0ELi0EfEvPKfPKT2_S1_Pf15soft_max_params.uses_vcc, or(1, .L__assert_fail.uses_vcc)
	.set _ZL12soft_max_f32ILb0ELi0ELi0EfEvPKfPKT2_S1_Pf15soft_max_params.uses_flat_scratch, or(0, .L__assert_fail.uses_flat_scratch)
	.set _ZL12soft_max_f32ILb0ELi0ELi0EfEvPKfPKT2_S1_Pf15soft_max_params.has_dyn_sized_stack, or(0, .L__assert_fail.has_dyn_sized_stack)
	.set _ZL12soft_max_f32ILb0ELi0ELi0EfEvPKfPKT2_S1_Pf15soft_max_params.has_recursion, or(0, .L__assert_fail.has_recursion)
	.set _ZL12soft_max_f32ILb0ELi0ELi0EfEvPKfPKT2_S1_Pf15soft_max_params.has_indirect_call, or(0, .L__assert_fail.has_indirect_call)
	.section	.AMDGPU.csdata,"",@progbits
; Kernel info:
; codeLenInByte = 5384
; TotalNumSgprs: 42
; NumVgprs: 57
; ScratchSize: 64
; MemoryBound: 0
; FloatMode: 240
; IeeeMode: 1
; LDSByteSize: 0 bytes/workgroup (compile time only)
; SGPRBlocks: 0
; VGPRBlocks: 3
; NumSGPRsForWavesPerEU: 42
; NumVGPRsForWavesPerEU: 57
; NamedBarCnt: 0
; Occupancy: 16
; WaveLimiterHint : 1
; COMPUTE_PGM_RSRC2:SCRATCH_EN: 1
; COMPUTE_PGM_RSRC2:USER_SGPR: 2
; COMPUTE_PGM_RSRC2:TRAP_HANDLER: 0
; COMPUTE_PGM_RSRC2:TGID_X_EN: 1
; COMPUTE_PGM_RSRC2:TGID_Y_EN: 1
; COMPUTE_PGM_RSRC2:TGID_Z_EN: 1
; COMPUTE_PGM_RSRC2:TIDIG_COMP_CNT: 0
	.text
	.p2alignl 7, 3214868480
	.fill 96, 4, 3214868480
	.section	.AMDGPU.gpr_maximums,"",@progbits
	.set amdgpu.max_num_vgpr, 55
	.set amdgpu.max_num_agpr, 0
	.set amdgpu.max_num_sgpr, 34
	.text
	.type	__const.__assert_fail.fmt,@object ; @__const.__assert_fail.fmt
	.section	.rodata.str1.16,"aMS",@progbits,1
	.p2align	4, 0x0
__const.__assert_fail.fmt:
	.asciz	"%s:%u: %s: Device-side assertion `%s' failed.\n"
	.size	__const.__assert_fail.fmt, 47

	.type	.str,@object                    ; @.str
	.section	.rodata.str1.1,"aMS",@progbits,1
.str:
	.asciz	"gridDim.x < blockDim.x"
	.size	.str, 23

	.type	.str.1,@object                  ; @.str.1
.str.1:
	.asciz	"/root/src/amdgpu-assembly/repos/ggml-org__llama.cpp/ggml/src/ggml-cuda/softmax.cu"
	.size	.str.1, 82

	.type	__PRETTY_FUNCTION__._ZL40soft_max_f32_parallelize_cols_single_rowPKfPfS1_S1_15soft_max_params,@object ; @__PRETTY_FUNCTION__._ZL40soft_max_f32_parallelize_cols_single_rowPKfPfS1_S1_15soft_max_params
__PRETTY_FUNCTION__._ZL40soft_max_f32_parallelize_cols_single_rowPKfPfS1_S1_15soft_max_params:
	.asciz	"void soft_max_f32_parallelize_cols_single_row(const float *__restrict, float *__restrict, float *__restrict, float *__restrict, const soft_max_params)"
	.size	__PRETTY_FUNCTION__._ZL40soft_max_f32_parallelize_cols_single_rowPKfPfS1_S1_15soft_max_params, 151

	.type	.str.2,@object                  ; @.str.2
.str.2:
	.asciz	"(block_size <= 1024) && (block_size % WARP_SIZE) == 0"
	.size	.str.2, 54

	.type	.str.3,@object                  ; @.str.3
.str.3:
	.asciz	"/root/src/amdgpu-assembly/repos/ggml-org__llama.cpp/ggml/src/ggml-cuda/common.cuh"
	.size	.str.3, 82

	.type	__PRETTY_FUNCTION__._ZL12block_reduceIL19block_reduce_method0ELj0EfET1_S1_PS1_,@object ; @__PRETTY_FUNCTION__._ZL12block_reduceIL19block_reduce_method0ELj0EfET1_S1_PS1_
__PRETTY_FUNCTION__._ZL12block_reduceIL19block_reduce_method0ELj0EfET1_S1_PS1_:
	.asciz	"T block_reduce(T, T *) [reduce_method_t = block_reduce_method::MAX, block_size_template = 0U, T = float]"
	.size	__PRETTY_FUNCTION__._ZL12block_reduceIL19block_reduce_method0ELj0EfET1_S1_PS1_, 105

	.type	__PRETTY_FUNCTION__._ZL12block_reduceIL19block_reduce_method1ELj0EfET1_S1_PS1_,@object ; @__PRETTY_FUNCTION__._ZL12block_reduceIL19block_reduce_method1ELj0EfET1_S1_PS1_
__PRETTY_FUNCTION__._ZL12block_reduceIL19block_reduce_method1ELj0EfET1_S1_PS1_:
	.asciz	"T block_reduce(T, T *) [reduce_method_t = block_reduce_method::SUM, block_size_template = 0U, T = float]"
	.size	__PRETTY_FUNCTION__._ZL12block_reduceIL19block_reduce_method1ELj0EfET1_S1_PS1_, 105

	.type	__hip_cuid_7f56452ca711c7ff,@object ; @__hip_cuid_7f56452ca711c7ff
	.section	.bss,"aw",@nobits
	.globl	__hip_cuid_7f56452ca711c7ff
__hip_cuid_7f56452ca711c7ff:
	.byte	0                               ; 0x0
	.size	__hip_cuid_7f56452ca711c7ff, 1

	.ident	"AMD clang version 22.0.0git (https://github.com/RadeonOpenCompute/llvm-project roc-7.2.4 26084 f58b06dce1f9c15707c5f808fd002e18c2accf7e)"
	.section	".note.GNU-stack","",@progbits
	.addrsig
	.addrsig_sym __hip_cuid_7f56452ca711c7ff
	.amdgpu_metadata
---
amdhsa.kernels:
  - .args:
      - .address_space:  global
        .offset:         0
        .size:           8
        .value_kind:     global_buffer
      - .address_space:  global
        .offset:         8
        .size:           8
        .value_kind:     global_buffer
      - .address_space:  global
        .offset:         16
        .size:           8
        .value_kind:     global_buffer
      - .offset:         24
        .size:           4
        .value_kind:     by_value
      - .offset:         28
        .size:           4
        .value_kind:     by_value
    .group_segment_fixed_size: 0
    .kernarg_segment_align: 8
    .kernarg_segment_size: 32
    .language:       OpenCL C
    .language_version:
      - 2
      - 0
    .max_flat_workgroup_size: 1024
    .name:           _ZL17soft_max_back_f32PKfS0_Pfif
    .private_segment_fixed_size: 0
    .sgpr_count:     16
    .sgpr_spill_count: 0
    .symbol:         _ZL17soft_max_back_f32PKfS0_Pfif.kd
    .uniform_work_group_size: 1
    .uses_dynamic_stack: false
    .vgpr_count:     10
    .vgpr_spill_count: 0
    .wavefront_size: 32
  - .args:
      - .actual_access:  read_only
        .address_space:  global
        .offset:         0
        .size:           8
        .value_kind:     global_buffer
      - .address_space:  global
        .offset:         8
        .size:           8
        .value_kind:     global_buffer
      - .address_space:  global
        .offset:         16
        .size:           8
        .value_kind:     global_buffer
      - .address_space:  global
        .offset:         24
        .size:           8
        .value_kind:     global_buffer
      - .offset:         32
        .size:           128
        .value_kind:     by_value
      - .offset:         160
        .size:           4
        .value_kind:     hidden_block_count_x
      - .offset:         164
        .size:           4
        .value_kind:     hidden_block_count_y
      - .offset:         168
        .size:           4
        .value_kind:     hidden_block_count_z
      - .offset:         172
        .size:           2
        .value_kind:     hidden_group_size_x
      - .offset:         174
        .size:           2
        .value_kind:     hidden_group_size_y
      - .offset:         176
        .size:           2
        .value_kind:     hidden_group_size_z
      - .offset:         178
        .size:           2
        .value_kind:     hidden_remainder_x
      - .offset:         180
        .size:           2
        .value_kind:     hidden_remainder_y
      - .offset:         182
        .size:           2
        .value_kind:     hidden_remainder_z
      - .offset:         200
        .size:           8
        .value_kind:     hidden_global_offset_x
      - .offset:         208
        .size:           8
        .value_kind:     hidden_global_offset_y
      - .offset:         216
        .size:           8
        .value_kind:     hidden_global_offset_z
      - .offset:         224
        .size:           2
        .value_kind:     hidden_grid_dims
      - .offset:         240
        .size:           8
        .value_kind:     hidden_hostcall_buffer
      - .offset:         248
        .size:           8
        .value_kind:     hidden_multigrid_sync_arg
    .group_segment_fixed_size: 128
    .kernarg_segment_align: 8
    .kernarg_segment_size: 416
    .language:       OpenCL C
    .language_version:
      - 2
      - 0
    .max_flat_workgroup_size: 256
    .name:           _ZL29soft_max_f32_parallelize_colsPKfPfS1_S1_15soft_max_params
    .private_segment_fixed_size: 64
    .sgpr_count:     48
    .sgpr_spill_count: 0
    .symbol:         _ZL29soft_max_f32_parallelize_colsPKfPfS1_S1_15soft_max_params.kd
    .uniform_work_group_size: 1
    .uses_dynamic_stack: false
    .vgpr_count:     55
    .vgpr_spill_count: 0
    .wavefront_size: 32
  - .args:
      - .address_space:  global
        .offset:         0
        .size:           8
        .value_kind:     global_buffer
      - .address_space:  global
        .offset:         8
        .size:           8
        .value_kind:     global_buffer
      - .address_space:  global
        .offset:         16
        .size:           8
        .value_kind:     global_buffer
      - .address_space:  global
        .offset:         24
        .size:           8
        .value_kind:     global_buffer
      - .offset:         32
        .size:           128
        .value_kind:     by_value
      - .offset:         160
        .size:           4
        .value_kind:     hidden_block_count_x
      - .offset:         164
        .size:           4
        .value_kind:     hidden_block_count_y
      - .offset:         168
        .size:           4
        .value_kind:     hidden_block_count_z
      - .offset:         172
        .size:           2
        .value_kind:     hidden_group_size_x
      - .offset:         174
        .size:           2
        .value_kind:     hidden_group_size_y
      - .offset:         176
        .size:           2
        .value_kind:     hidden_group_size_z
      - .offset:         178
        .size:           2
        .value_kind:     hidden_remainder_x
      - .offset:         180
        .size:           2
        .value_kind:     hidden_remainder_y
      - .offset:         182
        .size:           2
        .value_kind:     hidden_remainder_z
      - .offset:         200
        .size:           8
        .value_kind:     hidden_global_offset_x
      - .offset:         208
        .size:           8
        .value_kind:     hidden_global_offset_y
      - .offset:         216
        .size:           8
        .value_kind:     hidden_global_offset_z
      - .offset:         224
        .size:           2
        .value_kind:     hidden_grid_dims
      - .offset:         280
        .size:           4
        .value_kind:     hidden_dynamic_lds_size
    .group_segment_fixed_size: 0
    .kernarg_segment_align: 8
    .kernarg_segment_size: 416
    .language:       OpenCL C
    .language_version:
      - 2
      - 0
    .max_flat_workgroup_size: 1024
    .name:           _ZL12soft_max_f32ILb1ELi4096ELi1024E6__halfEvPKfPKT2_S2_Pf15soft_max_params
    .private_segment_fixed_size: 0
    .sgpr_count:     38
    .sgpr_spill_count: 0
    .symbol:         _ZL12soft_max_f32ILb1ELi4096ELi1024E6__halfEvPKfPKT2_S2_Pf15soft_max_params.kd
    .uniform_work_group_size: 1
    .uses_dynamic_stack: false
    .vgpr_count:     27
    .vgpr_spill_count: 0
    .wavefront_size: 32
  - .args:
      - .address_space:  global
        .offset:         0
        .size:           8
        .value_kind:     global_buffer
      - .address_space:  global
        .offset:         8
        .size:           8
        .value_kind:     global_buffer
      - .address_space:  global
        .offset:         16
        .size:           8
        .value_kind:     global_buffer
      - .address_space:  global
        .offset:         24
        .size:           8
        .value_kind:     global_buffer
      - .offset:         32
        .size:           128
        .value_kind:     by_value
      - .offset:         160
        .size:           4
        .value_kind:     hidden_block_count_x
      - .offset:         164
        .size:           4
        .value_kind:     hidden_block_count_y
      - .offset:         168
        .size:           4
        .value_kind:     hidden_block_count_z
      - .offset:         172
        .size:           2
        .value_kind:     hidden_group_size_x
      - .offset:         174
        .size:           2
        .value_kind:     hidden_group_size_y
      - .offset:         176
        .size:           2
        .value_kind:     hidden_group_size_z
      - .offset:         178
        .size:           2
        .value_kind:     hidden_remainder_x
      - .offset:         180
        .size:           2
        .value_kind:     hidden_remainder_y
      - .offset:         182
        .size:           2
        .value_kind:     hidden_remainder_z
      - .offset:         200
        .size:           8
        .value_kind:     hidden_global_offset_x
      - .offset:         208
        .size:           8
        .value_kind:     hidden_global_offset_y
      - .offset:         216
        .size:           8
        .value_kind:     hidden_global_offset_z
      - .offset:         224
        .size:           2
        .value_kind:     hidden_grid_dims
      - .offset:         280
        .size:           4
        .value_kind:     hidden_dynamic_lds_size
    .group_segment_fixed_size: 0
    .kernarg_segment_align: 8
    .kernarg_segment_size: 416
    .language:       OpenCL C
    .language_version:
      - 2
      - 0
    .max_flat_workgroup_size: 1024
    .name:           _ZL12soft_max_f32ILb1ELi2048ELi1024E6__halfEvPKfPKT2_S2_Pf15soft_max_params
    .private_segment_fixed_size: 0
    .sgpr_count:     38
    .sgpr_spill_count: 0
    .symbol:         _ZL12soft_max_f32ILb1ELi2048ELi1024E6__halfEvPKfPKT2_S2_Pf15soft_max_params.kd
    .uniform_work_group_size: 1
    .uses_dynamic_stack: false
    .vgpr_count:     19
    .vgpr_spill_count: 0
    .wavefront_size: 32
  - .args:
      - .address_space:  global
        .offset:         0
        .size:           8
        .value_kind:     global_buffer
      - .address_space:  global
        .offset:         8
        .size:           8
        .value_kind:     global_buffer
      - .address_space:  global
        .offset:         16
        .size:           8
        .value_kind:     global_buffer
      - .address_space:  global
        .offset:         24
        .size:           8
        .value_kind:     global_buffer
      - .offset:         32
        .size:           128
        .value_kind:     by_value
      - .offset:         160
        .size:           4
        .value_kind:     hidden_block_count_x
      - .offset:         164
        .size:           4
        .value_kind:     hidden_block_count_y
      - .offset:         168
        .size:           4
        .value_kind:     hidden_block_count_z
      - .offset:         172
        .size:           2
        .value_kind:     hidden_group_size_x
      - .offset:         174
        .size:           2
        .value_kind:     hidden_group_size_y
      - .offset:         176
        .size:           2
        .value_kind:     hidden_group_size_z
      - .offset:         178
        .size:           2
        .value_kind:     hidden_remainder_x
      - .offset:         180
        .size:           2
        .value_kind:     hidden_remainder_y
      - .offset:         182
        .size:           2
        .value_kind:     hidden_remainder_z
      - .offset:         200
        .size:           8
        .value_kind:     hidden_global_offset_x
      - .offset:         208
        .size:           8
        .value_kind:     hidden_global_offset_y
      - .offset:         216
        .size:           8
        .value_kind:     hidden_global_offset_z
      - .offset:         224
        .size:           2
        .value_kind:     hidden_grid_dims
      - .offset:         280
        .size:           4
        .value_kind:     hidden_dynamic_lds_size
    .group_segment_fixed_size: 0
    .kernarg_segment_align: 8
    .kernarg_segment_size: 416
    .language:       OpenCL C
    .language_version:
      - 2
      - 0
    .max_flat_workgroup_size: 1024
    .name:           _ZL12soft_max_f32ILb1ELi1024ELi1024E6__halfEvPKfPKT2_S2_Pf15soft_max_params
    .private_segment_fixed_size: 0
    .sgpr_count:     38
    .sgpr_spill_count: 0
    .symbol:         _ZL12soft_max_f32ILb1ELi1024ELi1024E6__halfEvPKfPKT2_S2_Pf15soft_max_params.kd
    .uniform_work_group_size: 1
    .uses_dynamic_stack: false
    .vgpr_count:     18
    .vgpr_spill_count: 0
    .wavefront_size: 32
  - .args:
      - .address_space:  global
        .offset:         0
        .size:           8
        .value_kind:     global_buffer
      - .address_space:  global
        .offset:         8
        .size:           8
        .value_kind:     global_buffer
      - .address_space:  global
        .offset:         16
        .size:           8
        .value_kind:     global_buffer
      - .address_space:  global
        .offset:         24
        .size:           8
        .value_kind:     global_buffer
      - .offset:         32
        .size:           128
        .value_kind:     by_value
      - .offset:         160
        .size:           4
        .value_kind:     hidden_block_count_x
      - .offset:         164
        .size:           4
        .value_kind:     hidden_block_count_y
      - .offset:         168
        .size:           4
        .value_kind:     hidden_block_count_z
      - .offset:         172
        .size:           2
        .value_kind:     hidden_group_size_x
      - .offset:         174
        .size:           2
        .value_kind:     hidden_group_size_y
      - .offset:         176
        .size:           2
        .value_kind:     hidden_group_size_z
      - .offset:         178
        .size:           2
        .value_kind:     hidden_remainder_x
      - .offset:         180
        .size:           2
        .value_kind:     hidden_remainder_y
      - .offset:         182
        .size:           2
        .value_kind:     hidden_remainder_z
      - .offset:         200
        .size:           8
        .value_kind:     hidden_global_offset_x
      - .offset:         208
        .size:           8
        .value_kind:     hidden_global_offset_y
      - .offset:         216
        .size:           8
        .value_kind:     hidden_global_offset_z
      - .offset:         224
        .size:           2
        .value_kind:     hidden_grid_dims
      - .offset:         280
        .size:           4
        .value_kind:     hidden_dynamic_lds_size
    .group_segment_fixed_size: 0
    .kernarg_segment_align: 8
    .kernarg_segment_size: 416
    .language:       OpenCL C
    .language_version:
      - 2
      - 0
    .max_flat_workgroup_size: 1024
    .name:           _ZL12soft_max_f32ILb1ELi512ELi512E6__halfEvPKfPKT2_S2_Pf15soft_max_params
    .private_segment_fixed_size: 0
    .sgpr_count:     38
    .sgpr_spill_count: 0
    .symbol:         _ZL12soft_max_f32ILb1ELi512ELi512E6__halfEvPKfPKT2_S2_Pf15soft_max_params.kd
    .uniform_work_group_size: 1
    .uses_dynamic_stack: false
    .vgpr_count:     18
    .vgpr_spill_count: 0
    .wavefront_size: 32
  - .args:
      - .address_space:  global
        .offset:         0
        .size:           8
        .value_kind:     global_buffer
      - .address_space:  global
        .offset:         8
        .size:           8
        .value_kind:     global_buffer
      - .address_space:  global
        .offset:         16
        .size:           8
        .value_kind:     global_buffer
      - .address_space:  global
        .offset:         24
        .size:           8
        .value_kind:     global_buffer
      - .offset:         32
        .size:           128
        .value_kind:     by_value
      - .offset:         160
        .size:           4
        .value_kind:     hidden_block_count_x
      - .offset:         164
        .size:           4
        .value_kind:     hidden_block_count_y
      - .offset:         168
        .size:           4
        .value_kind:     hidden_block_count_z
      - .offset:         172
        .size:           2
        .value_kind:     hidden_group_size_x
      - .offset:         174
        .size:           2
        .value_kind:     hidden_group_size_y
      - .offset:         176
        .size:           2
        .value_kind:     hidden_group_size_z
      - .offset:         178
        .size:           2
        .value_kind:     hidden_remainder_x
      - .offset:         180
        .size:           2
        .value_kind:     hidden_remainder_y
      - .offset:         182
        .size:           2
        .value_kind:     hidden_remainder_z
      - .offset:         200
        .size:           8
        .value_kind:     hidden_global_offset_x
      - .offset:         208
        .size:           8
        .value_kind:     hidden_global_offset_y
      - .offset:         216
        .size:           8
        .value_kind:     hidden_global_offset_z
      - .offset:         224
        .size:           2
        .value_kind:     hidden_grid_dims
      - .offset:         280
        .size:           4
        .value_kind:     hidden_dynamic_lds_size
    .group_segment_fixed_size: 0
    .kernarg_segment_align: 8
    .kernarg_segment_size: 416
    .language:       OpenCL C
    .language_version:
      - 2
      - 0
    .max_flat_workgroup_size: 1024
    .name:           _ZL12soft_max_f32ILb1ELi256ELi256E6__halfEvPKfPKT2_S2_Pf15soft_max_params
    .private_segment_fixed_size: 0
    .sgpr_count:     38
    .sgpr_spill_count: 0
    .symbol:         _ZL12soft_max_f32ILb1ELi256ELi256E6__halfEvPKfPKT2_S2_Pf15soft_max_params.kd
    .uniform_work_group_size: 1
    .uses_dynamic_stack: false
    .vgpr_count:     18
    .vgpr_spill_count: 0
    .wavefront_size: 32
  - .args:
      - .address_space:  global
        .offset:         0
        .size:           8
        .value_kind:     global_buffer
      - .address_space:  global
        .offset:         8
        .size:           8
        .value_kind:     global_buffer
      - .address_space:  global
        .offset:         16
        .size:           8
        .value_kind:     global_buffer
      - .address_space:  global
        .offset:         24
        .size:           8
        .value_kind:     global_buffer
      - .offset:         32
        .size:           128
        .value_kind:     by_value
      - .offset:         160
        .size:           4
        .value_kind:     hidden_block_count_x
      - .offset:         164
        .size:           4
        .value_kind:     hidden_block_count_y
      - .offset:         168
        .size:           4
        .value_kind:     hidden_block_count_z
      - .offset:         172
        .size:           2
        .value_kind:     hidden_group_size_x
      - .offset:         174
        .size:           2
        .value_kind:     hidden_group_size_y
      - .offset:         176
        .size:           2
        .value_kind:     hidden_group_size_z
      - .offset:         178
        .size:           2
        .value_kind:     hidden_remainder_x
      - .offset:         180
        .size:           2
        .value_kind:     hidden_remainder_y
      - .offset:         182
        .size:           2
        .value_kind:     hidden_remainder_z
      - .offset:         200
        .size:           8
        .value_kind:     hidden_global_offset_x
      - .offset:         208
        .size:           8
        .value_kind:     hidden_global_offset_y
      - .offset:         216
        .size:           8
        .value_kind:     hidden_global_offset_z
      - .offset:         224
        .size:           2
        .value_kind:     hidden_grid_dims
      - .offset:         280
        .size:           4
        .value_kind:     hidden_dynamic_lds_size
    .group_segment_fixed_size: 0
    .kernarg_segment_align: 8
    .kernarg_segment_size: 416
    .language:       OpenCL C
    .language_version:
      - 2
      - 0
    .max_flat_workgroup_size: 1024
    .name:           _ZL12soft_max_f32ILb1ELi128ELi128E6__halfEvPKfPKT2_S2_Pf15soft_max_params
    .private_segment_fixed_size: 0
    .sgpr_count:     38
    .sgpr_spill_count: 0
    .symbol:         _ZL12soft_max_f32ILb1ELi128ELi128E6__halfEvPKfPKT2_S2_Pf15soft_max_params.kd
    .uniform_work_group_size: 1
    .uses_dynamic_stack: false
    .vgpr_count:     18
    .vgpr_spill_count: 0
    .wavefront_size: 32
  - .args:
      - .address_space:  global
        .offset:         0
        .size:           8
        .value_kind:     global_buffer
      - .address_space:  global
        .offset:         8
        .size:           8
        .value_kind:     global_buffer
      - .address_space:  global
        .offset:         16
        .size:           8
        .value_kind:     global_buffer
      - .address_space:  global
        .offset:         24
        .size:           8
        .value_kind:     global_buffer
      - .offset:         32
        .size:           128
        .value_kind:     by_value
      - .offset:         160
        .size:           4
        .value_kind:     hidden_block_count_x
      - .offset:         164
        .size:           4
        .value_kind:     hidden_block_count_y
      - .offset:         168
        .size:           4
        .value_kind:     hidden_block_count_z
      - .offset:         172
        .size:           2
        .value_kind:     hidden_group_size_x
      - .offset:         174
        .size:           2
        .value_kind:     hidden_group_size_y
      - .offset:         176
        .size:           2
        .value_kind:     hidden_group_size_z
      - .offset:         178
        .size:           2
        .value_kind:     hidden_remainder_x
      - .offset:         180
        .size:           2
        .value_kind:     hidden_remainder_y
      - .offset:         182
        .size:           2
        .value_kind:     hidden_remainder_z
      - .offset:         200
        .size:           8
        .value_kind:     hidden_global_offset_x
      - .offset:         208
        .size:           8
        .value_kind:     hidden_global_offset_y
      - .offset:         216
        .size:           8
        .value_kind:     hidden_global_offset_z
      - .offset:         224
        .size:           2
        .value_kind:     hidden_grid_dims
      - .offset:         280
        .size:           4
        .value_kind:     hidden_dynamic_lds_size
    .group_segment_fixed_size: 0
    .kernarg_segment_align: 8
    .kernarg_segment_size: 416
    .language:       OpenCL C
    .language_version:
      - 2
      - 0
    .max_flat_workgroup_size: 1024
    .name:           _ZL12soft_max_f32ILb1ELi64ELi64E6__halfEvPKfPKT2_S2_Pf15soft_max_params
    .private_segment_fixed_size: 0
    .sgpr_count:     38
    .sgpr_spill_count: 0
    .symbol:         _ZL12soft_max_f32ILb1ELi64ELi64E6__halfEvPKfPKT2_S2_Pf15soft_max_params.kd
    .uniform_work_group_size: 1
    .uses_dynamic_stack: false
    .vgpr_count:     18
    .vgpr_spill_count: 0
    .wavefront_size: 32
  - .args:
      - .address_space:  global
        .offset:         0
        .size:           8
        .value_kind:     global_buffer
      - .address_space:  global
        .offset:         8
        .size:           8
        .value_kind:     global_buffer
      - .address_space:  global
        .offset:         16
        .size:           8
        .value_kind:     global_buffer
      - .address_space:  global
        .offset:         24
        .size:           8
        .value_kind:     global_buffer
      - .offset:         32
        .size:           128
        .value_kind:     by_value
      - .offset:         160
        .size:           4
        .value_kind:     hidden_block_count_x
      - .offset:         164
        .size:           4
        .value_kind:     hidden_block_count_y
      - .offset:         168
        .size:           4
        .value_kind:     hidden_block_count_z
      - .offset:         172
        .size:           2
        .value_kind:     hidden_group_size_x
      - .offset:         174
        .size:           2
        .value_kind:     hidden_group_size_y
      - .offset:         176
        .size:           2
        .value_kind:     hidden_group_size_z
      - .offset:         178
        .size:           2
        .value_kind:     hidden_remainder_x
      - .offset:         180
        .size:           2
        .value_kind:     hidden_remainder_y
      - .offset:         182
        .size:           2
        .value_kind:     hidden_remainder_z
      - .offset:         200
        .size:           8
        .value_kind:     hidden_global_offset_x
      - .offset:         208
        .size:           8
        .value_kind:     hidden_global_offset_y
      - .offset:         216
        .size:           8
        .value_kind:     hidden_global_offset_z
      - .offset:         224
        .size:           2
        .value_kind:     hidden_grid_dims
      - .offset:         280
        .size:           4
        .value_kind:     hidden_dynamic_lds_size
    .group_segment_fixed_size: 0
    .kernarg_segment_align: 8
    .kernarg_segment_size: 416
    .language:       OpenCL C
    .language_version:
      - 2
      - 0
    .max_flat_workgroup_size: 1024
    .name:           _ZL12soft_max_f32ILb1ELi32ELi32E6__halfEvPKfPKT2_S2_Pf15soft_max_params
    .private_segment_fixed_size: 0
    .sgpr_count:     38
    .sgpr_spill_count: 0
    .symbol:         _ZL12soft_max_f32ILb1ELi32ELi32E6__halfEvPKfPKT2_S2_Pf15soft_max_params.kd
    .uniform_work_group_size: 1
    .uses_dynamic_stack: false
    .vgpr_count:     18
    .vgpr_spill_count: 0
    .wavefront_size: 32
  - .args:
      - .address_space:  global
        .offset:         0
        .size:           8
        .value_kind:     global_buffer
      - .address_space:  global
        .offset:         8
        .size:           8
        .value_kind:     global_buffer
      - .address_space:  global
        .offset:         16
        .size:           8
        .value_kind:     global_buffer
      - .address_space:  global
        .offset:         24
        .size:           8
        .value_kind:     global_buffer
      - .offset:         32
        .size:           128
        .value_kind:     by_value
      - .offset:         160
        .size:           4
        .value_kind:     hidden_block_count_x
      - .offset:         164
        .size:           4
        .value_kind:     hidden_block_count_y
      - .offset:         168
        .size:           4
        .value_kind:     hidden_block_count_z
      - .offset:         172
        .size:           2
        .value_kind:     hidden_group_size_x
      - .offset:         174
        .size:           2
        .value_kind:     hidden_group_size_y
      - .offset:         176
        .size:           2
        .value_kind:     hidden_group_size_z
      - .offset:         178
        .size:           2
        .value_kind:     hidden_remainder_x
      - .offset:         180
        .size:           2
        .value_kind:     hidden_remainder_y
      - .offset:         182
        .size:           2
        .value_kind:     hidden_remainder_z
      - .offset:         200
        .size:           8
        .value_kind:     hidden_global_offset_x
      - .offset:         208
        .size:           8
        .value_kind:     hidden_global_offset_y
      - .offset:         216
        .size:           8
        .value_kind:     hidden_global_offset_z
      - .offset:         224
        .size:           2
        .value_kind:     hidden_grid_dims
      - .offset:         240
        .size:           8
        .value_kind:     hidden_hostcall_buffer
      - .offset:         280
        .size:           4
        .value_kind:     hidden_dynamic_lds_size
    .group_segment_fixed_size: 0
    .kernarg_segment_align: 8
    .kernarg_segment_size: 416
    .language:       OpenCL C
    .language_version:
      - 2
      - 0
    .max_flat_workgroup_size: 1024
    .name:           _ZL12soft_max_f32ILb1ELi0ELi0E6__halfEvPKfPKT2_S2_Pf15soft_max_params
    .private_segment_fixed_size: 64
    .sgpr_count:     42
    .sgpr_spill_count: 0
    .symbol:         _ZL12soft_max_f32ILb1ELi0ELi0E6__halfEvPKfPKT2_S2_Pf15soft_max_params.kd
    .uniform_work_group_size: 1
    .uses_dynamic_stack: false
    .vgpr_count:     57
    .vgpr_spill_count: 0
    .wavefront_size: 32
  - .args:
      - .address_space:  global
        .offset:         0
        .size:           8
        .value_kind:     global_buffer
      - .address_space:  global
        .offset:         8
        .size:           8
        .value_kind:     global_buffer
      - .address_space:  global
        .offset:         16
        .size:           8
        .value_kind:     global_buffer
      - .address_space:  global
        .offset:         24
        .size:           8
        .value_kind:     global_buffer
      - .offset:         32
        .size:           128
        .value_kind:     by_value
      - .offset:         160
        .size:           4
        .value_kind:     hidden_block_count_x
      - .offset:         164
        .size:           4
        .value_kind:     hidden_block_count_y
      - .offset:         168
        .size:           4
        .value_kind:     hidden_block_count_z
      - .offset:         172
        .size:           2
        .value_kind:     hidden_group_size_x
      - .offset:         174
        .size:           2
        .value_kind:     hidden_group_size_y
      - .offset:         176
        .size:           2
        .value_kind:     hidden_group_size_z
      - .offset:         178
        .size:           2
        .value_kind:     hidden_remainder_x
      - .offset:         180
        .size:           2
        .value_kind:     hidden_remainder_y
      - .offset:         182
        .size:           2
        .value_kind:     hidden_remainder_z
      - .offset:         200
        .size:           8
        .value_kind:     hidden_global_offset_x
      - .offset:         208
        .size:           8
        .value_kind:     hidden_global_offset_y
      - .offset:         216
        .size:           8
        .value_kind:     hidden_global_offset_z
      - .offset:         224
        .size:           2
        .value_kind:     hidden_grid_dims
      - .offset:         240
        .size:           8
        .value_kind:     hidden_hostcall_buffer
      - .offset:         280
        .size:           4
        .value_kind:     hidden_dynamic_lds_size
    .group_segment_fixed_size: 0
    .kernarg_segment_align: 8
    .kernarg_segment_size: 416
    .language:       OpenCL C
    .language_version:
      - 2
      - 0
    .max_flat_workgroup_size: 1024
    .name:           _ZL12soft_max_f32ILb0ELi0ELi0E6__halfEvPKfPKT2_S2_Pf15soft_max_params
    .private_segment_fixed_size: 64
    .sgpr_count:     42
    .sgpr_spill_count: 0
    .symbol:         _ZL12soft_max_f32ILb0ELi0ELi0E6__halfEvPKfPKT2_S2_Pf15soft_max_params.kd
    .uniform_work_group_size: 1
    .uses_dynamic_stack: false
    .vgpr_count:     57
    .vgpr_spill_count: 0
    .wavefront_size: 32
  - .args:
      - .address_space:  global
        .offset:         0
        .size:           8
        .value_kind:     global_buffer
      - .address_space:  global
        .offset:         8
        .size:           8
        .value_kind:     global_buffer
      - .address_space:  global
        .offset:         16
        .size:           8
        .value_kind:     global_buffer
      - .address_space:  global
        .offset:         24
        .size:           8
        .value_kind:     global_buffer
      - .offset:         32
        .size:           128
        .value_kind:     by_value
      - .offset:         160
        .size:           4
        .value_kind:     hidden_block_count_x
      - .offset:         164
        .size:           4
        .value_kind:     hidden_block_count_y
      - .offset:         168
        .size:           4
        .value_kind:     hidden_block_count_z
      - .offset:         172
        .size:           2
        .value_kind:     hidden_group_size_x
      - .offset:         174
        .size:           2
        .value_kind:     hidden_group_size_y
      - .offset:         176
        .size:           2
        .value_kind:     hidden_group_size_z
      - .offset:         178
        .size:           2
        .value_kind:     hidden_remainder_x
      - .offset:         180
        .size:           2
        .value_kind:     hidden_remainder_y
      - .offset:         182
        .size:           2
        .value_kind:     hidden_remainder_z
      - .offset:         200
        .size:           8
        .value_kind:     hidden_global_offset_x
      - .offset:         208
        .size:           8
        .value_kind:     hidden_global_offset_y
      - .offset:         216
        .size:           8
        .value_kind:     hidden_global_offset_z
      - .offset:         224
        .size:           2
        .value_kind:     hidden_grid_dims
      - .offset:         280
        .size:           4
        .value_kind:     hidden_dynamic_lds_size
    .group_segment_fixed_size: 0
    .kernarg_segment_align: 8
    .kernarg_segment_size: 416
    .language:       OpenCL C
    .language_version:
      - 2
      - 0
    .max_flat_workgroup_size: 1024
    .name:           _ZL12soft_max_f32ILb1ELi4096ELi1024EfEvPKfPKT2_S1_Pf15soft_max_params
    .private_segment_fixed_size: 0
    .sgpr_count:     38
    .sgpr_spill_count: 0
    .symbol:         _ZL12soft_max_f32ILb1ELi4096ELi1024EfEvPKfPKT2_S1_Pf15soft_max_params.kd
    .uniform_work_group_size: 1
    .uses_dynamic_stack: false
    .vgpr_count:     27
    .vgpr_spill_count: 0
    .wavefront_size: 32
  - .args:
      - .address_space:  global
        .offset:         0
        .size:           8
        .value_kind:     global_buffer
      - .address_space:  global
        .offset:         8
        .size:           8
        .value_kind:     global_buffer
      - .address_space:  global
        .offset:         16
        .size:           8
        .value_kind:     global_buffer
      - .address_space:  global
        .offset:         24
        .size:           8
        .value_kind:     global_buffer
      - .offset:         32
        .size:           128
        .value_kind:     by_value
      - .offset:         160
        .size:           4
        .value_kind:     hidden_block_count_x
      - .offset:         164
        .size:           4
        .value_kind:     hidden_block_count_y
      - .offset:         168
        .size:           4
        .value_kind:     hidden_block_count_z
      - .offset:         172
        .size:           2
        .value_kind:     hidden_group_size_x
      - .offset:         174
        .size:           2
        .value_kind:     hidden_group_size_y
      - .offset:         176
        .size:           2
        .value_kind:     hidden_group_size_z
      - .offset:         178
        .size:           2
        .value_kind:     hidden_remainder_x
      - .offset:         180
        .size:           2
        .value_kind:     hidden_remainder_y
      - .offset:         182
        .size:           2
        .value_kind:     hidden_remainder_z
      - .offset:         200
        .size:           8
        .value_kind:     hidden_global_offset_x
      - .offset:         208
        .size:           8
        .value_kind:     hidden_global_offset_y
      - .offset:         216
        .size:           8
        .value_kind:     hidden_global_offset_z
      - .offset:         224
        .size:           2
        .value_kind:     hidden_grid_dims
      - .offset:         280
        .size:           4
        .value_kind:     hidden_dynamic_lds_size
    .group_segment_fixed_size: 0
    .kernarg_segment_align: 8
    .kernarg_segment_size: 416
    .language:       OpenCL C
    .language_version:
      - 2
      - 0
    .max_flat_workgroup_size: 1024
    .name:           _ZL12soft_max_f32ILb1ELi2048ELi1024EfEvPKfPKT2_S1_Pf15soft_max_params
    .private_segment_fixed_size: 0
    .sgpr_count:     38
    .sgpr_spill_count: 0
    .symbol:         _ZL12soft_max_f32ILb1ELi2048ELi1024EfEvPKfPKT2_S1_Pf15soft_max_params.kd
    .uniform_work_group_size: 1
    .uses_dynamic_stack: false
    .vgpr_count:     19
    .vgpr_spill_count: 0
    .wavefront_size: 32
  - .args:
      - .address_space:  global
        .offset:         0
        .size:           8
        .value_kind:     global_buffer
      - .address_space:  global
        .offset:         8
        .size:           8
        .value_kind:     global_buffer
      - .address_space:  global
        .offset:         16
        .size:           8
        .value_kind:     global_buffer
      - .address_space:  global
        .offset:         24
        .size:           8
        .value_kind:     global_buffer
      - .offset:         32
        .size:           128
        .value_kind:     by_value
      - .offset:         160
        .size:           4
        .value_kind:     hidden_block_count_x
      - .offset:         164
        .size:           4
        .value_kind:     hidden_block_count_y
      - .offset:         168
        .size:           4
        .value_kind:     hidden_block_count_z
      - .offset:         172
        .size:           2
        .value_kind:     hidden_group_size_x
      - .offset:         174
        .size:           2
        .value_kind:     hidden_group_size_y
      - .offset:         176
        .size:           2
        .value_kind:     hidden_group_size_z
      - .offset:         178
        .size:           2
        .value_kind:     hidden_remainder_x
      - .offset:         180
        .size:           2
        .value_kind:     hidden_remainder_y
      - .offset:         182
        .size:           2
        .value_kind:     hidden_remainder_z
      - .offset:         200
        .size:           8
        .value_kind:     hidden_global_offset_x
      - .offset:         208
        .size:           8
        .value_kind:     hidden_global_offset_y
      - .offset:         216
        .size:           8
        .value_kind:     hidden_global_offset_z
      - .offset:         224
        .size:           2
        .value_kind:     hidden_grid_dims
      - .offset:         280
        .size:           4
        .value_kind:     hidden_dynamic_lds_size
    .group_segment_fixed_size: 0
    .kernarg_segment_align: 8
    .kernarg_segment_size: 416
    .language:       OpenCL C
    .language_version:
      - 2
      - 0
    .max_flat_workgroup_size: 1024
    .name:           _ZL12soft_max_f32ILb1ELi1024ELi1024EfEvPKfPKT2_S1_Pf15soft_max_params
    .private_segment_fixed_size: 0
    .sgpr_count:     38
    .sgpr_spill_count: 0
    .symbol:         _ZL12soft_max_f32ILb1ELi1024ELi1024EfEvPKfPKT2_S1_Pf15soft_max_params.kd
    .uniform_work_group_size: 1
    .uses_dynamic_stack: false
    .vgpr_count:     18
    .vgpr_spill_count: 0
    .wavefront_size: 32
  - .args:
      - .address_space:  global
        .offset:         0
        .size:           8
        .value_kind:     global_buffer
      - .address_space:  global
        .offset:         8
        .size:           8
        .value_kind:     global_buffer
      - .address_space:  global
        .offset:         16
        .size:           8
        .value_kind:     global_buffer
      - .address_space:  global
        .offset:         24
        .size:           8
        .value_kind:     global_buffer
      - .offset:         32
        .size:           128
        .value_kind:     by_value
      - .offset:         160
        .size:           4
        .value_kind:     hidden_block_count_x
      - .offset:         164
        .size:           4
        .value_kind:     hidden_block_count_y
      - .offset:         168
        .size:           4
        .value_kind:     hidden_block_count_z
      - .offset:         172
        .size:           2
        .value_kind:     hidden_group_size_x
      - .offset:         174
        .size:           2
        .value_kind:     hidden_group_size_y
      - .offset:         176
        .size:           2
        .value_kind:     hidden_group_size_z
      - .offset:         178
        .size:           2
        .value_kind:     hidden_remainder_x
      - .offset:         180
        .size:           2
        .value_kind:     hidden_remainder_y
      - .offset:         182
        .size:           2
        .value_kind:     hidden_remainder_z
      - .offset:         200
        .size:           8
        .value_kind:     hidden_global_offset_x
      - .offset:         208
        .size:           8
        .value_kind:     hidden_global_offset_y
      - .offset:         216
        .size:           8
        .value_kind:     hidden_global_offset_z
      - .offset:         224
        .size:           2
        .value_kind:     hidden_grid_dims
      - .offset:         280
        .size:           4
        .value_kind:     hidden_dynamic_lds_size
    .group_segment_fixed_size: 0
    .kernarg_segment_align: 8
    .kernarg_segment_size: 416
    .language:       OpenCL C
    .language_version:
      - 2
      - 0
    .max_flat_workgroup_size: 1024
    .name:           _ZL12soft_max_f32ILb1ELi512ELi512EfEvPKfPKT2_S1_Pf15soft_max_params
    .private_segment_fixed_size: 0
    .sgpr_count:     38
    .sgpr_spill_count: 0
    .symbol:         _ZL12soft_max_f32ILb1ELi512ELi512EfEvPKfPKT2_S1_Pf15soft_max_params.kd
    .uniform_work_group_size: 1
    .uses_dynamic_stack: false
    .vgpr_count:     18
    .vgpr_spill_count: 0
    .wavefront_size: 32
  - .args:
      - .address_space:  global
        .offset:         0
        .size:           8
        .value_kind:     global_buffer
      - .address_space:  global
        .offset:         8
        .size:           8
        .value_kind:     global_buffer
      - .address_space:  global
        .offset:         16
        .size:           8
        .value_kind:     global_buffer
      - .address_space:  global
        .offset:         24
        .size:           8
        .value_kind:     global_buffer
      - .offset:         32
        .size:           128
        .value_kind:     by_value
      - .offset:         160
        .size:           4
        .value_kind:     hidden_block_count_x
      - .offset:         164
        .size:           4
        .value_kind:     hidden_block_count_y
      - .offset:         168
        .size:           4
        .value_kind:     hidden_block_count_z
      - .offset:         172
        .size:           2
        .value_kind:     hidden_group_size_x
      - .offset:         174
        .size:           2
        .value_kind:     hidden_group_size_y
      - .offset:         176
        .size:           2
        .value_kind:     hidden_group_size_z
      - .offset:         178
        .size:           2
        .value_kind:     hidden_remainder_x
      - .offset:         180
        .size:           2
        .value_kind:     hidden_remainder_y
      - .offset:         182
        .size:           2
        .value_kind:     hidden_remainder_z
      - .offset:         200
        .size:           8
        .value_kind:     hidden_global_offset_x
      - .offset:         208
        .size:           8
        .value_kind:     hidden_global_offset_y
      - .offset:         216
        .size:           8
        .value_kind:     hidden_global_offset_z
      - .offset:         224
        .size:           2
        .value_kind:     hidden_grid_dims
      - .offset:         280
        .size:           4
        .value_kind:     hidden_dynamic_lds_size
    .group_segment_fixed_size: 0
    .kernarg_segment_align: 8
    .kernarg_segment_size: 416
    .language:       OpenCL C
    .language_version:
      - 2
      - 0
    .max_flat_workgroup_size: 1024
    .name:           _ZL12soft_max_f32ILb1ELi256ELi256EfEvPKfPKT2_S1_Pf15soft_max_params
    .private_segment_fixed_size: 0
    .sgpr_count:     38
    .sgpr_spill_count: 0
    .symbol:         _ZL12soft_max_f32ILb1ELi256ELi256EfEvPKfPKT2_S1_Pf15soft_max_params.kd
    .uniform_work_group_size: 1
    .uses_dynamic_stack: false
    .vgpr_count:     18
    .vgpr_spill_count: 0
    .wavefront_size: 32
  - .args:
      - .address_space:  global
        .offset:         0
        .size:           8
        .value_kind:     global_buffer
      - .address_space:  global
        .offset:         8
        .size:           8
        .value_kind:     global_buffer
      - .address_space:  global
        .offset:         16
        .size:           8
        .value_kind:     global_buffer
      - .address_space:  global
        .offset:         24
        .size:           8
        .value_kind:     global_buffer
      - .offset:         32
        .size:           128
        .value_kind:     by_value
      - .offset:         160
        .size:           4
        .value_kind:     hidden_block_count_x
      - .offset:         164
        .size:           4
        .value_kind:     hidden_block_count_y
      - .offset:         168
        .size:           4
        .value_kind:     hidden_block_count_z
      - .offset:         172
        .size:           2
        .value_kind:     hidden_group_size_x
      - .offset:         174
        .size:           2
        .value_kind:     hidden_group_size_y
      - .offset:         176
        .size:           2
        .value_kind:     hidden_group_size_z
      - .offset:         178
        .size:           2
        .value_kind:     hidden_remainder_x
      - .offset:         180
        .size:           2
        .value_kind:     hidden_remainder_y
      - .offset:         182
        .size:           2
        .value_kind:     hidden_remainder_z
      - .offset:         200
        .size:           8
        .value_kind:     hidden_global_offset_x
      - .offset:         208
        .size:           8
        .value_kind:     hidden_global_offset_y
      - .offset:         216
        .size:           8
        .value_kind:     hidden_global_offset_z
      - .offset:         224
        .size:           2
        .value_kind:     hidden_grid_dims
      - .offset:         280
        .size:           4
        .value_kind:     hidden_dynamic_lds_size
    .group_segment_fixed_size: 0
    .kernarg_segment_align: 8
    .kernarg_segment_size: 416
    .language:       OpenCL C
    .language_version:
      - 2
      - 0
    .max_flat_workgroup_size: 1024
    .name:           _ZL12soft_max_f32ILb1ELi128ELi128EfEvPKfPKT2_S1_Pf15soft_max_params
    .private_segment_fixed_size: 0
    .sgpr_count:     38
    .sgpr_spill_count: 0
    .symbol:         _ZL12soft_max_f32ILb1ELi128ELi128EfEvPKfPKT2_S1_Pf15soft_max_params.kd
    .uniform_work_group_size: 1
    .uses_dynamic_stack: false
    .vgpr_count:     18
    .vgpr_spill_count: 0
    .wavefront_size: 32
  - .args:
      - .address_space:  global
        .offset:         0
        .size:           8
        .value_kind:     global_buffer
      - .address_space:  global
        .offset:         8
        .size:           8
        .value_kind:     global_buffer
      - .address_space:  global
        .offset:         16
        .size:           8
        .value_kind:     global_buffer
      - .address_space:  global
        .offset:         24
        .size:           8
        .value_kind:     global_buffer
      - .offset:         32
        .size:           128
        .value_kind:     by_value
      - .offset:         160
        .size:           4
        .value_kind:     hidden_block_count_x
      - .offset:         164
        .size:           4
        .value_kind:     hidden_block_count_y
      - .offset:         168
        .size:           4
        .value_kind:     hidden_block_count_z
      - .offset:         172
        .size:           2
        .value_kind:     hidden_group_size_x
      - .offset:         174
        .size:           2
        .value_kind:     hidden_group_size_y
      - .offset:         176
        .size:           2
        .value_kind:     hidden_group_size_z
      - .offset:         178
        .size:           2
        .value_kind:     hidden_remainder_x
      - .offset:         180
        .size:           2
        .value_kind:     hidden_remainder_y
      - .offset:         182
        .size:           2
        .value_kind:     hidden_remainder_z
      - .offset:         200
        .size:           8
        .value_kind:     hidden_global_offset_x
      - .offset:         208
        .size:           8
        .value_kind:     hidden_global_offset_y
      - .offset:         216
        .size:           8
        .value_kind:     hidden_global_offset_z
      - .offset:         224
        .size:           2
        .value_kind:     hidden_grid_dims
      - .offset:         280
        .size:           4
        .value_kind:     hidden_dynamic_lds_size
    .group_segment_fixed_size: 0
    .kernarg_segment_align: 8
    .kernarg_segment_size: 416
    .language:       OpenCL C
    .language_version:
      - 2
      - 0
    .max_flat_workgroup_size: 1024
    .name:           _ZL12soft_max_f32ILb1ELi64ELi64EfEvPKfPKT2_S1_Pf15soft_max_params
    .private_segment_fixed_size: 0
    .sgpr_count:     38
    .sgpr_spill_count: 0
    .symbol:         _ZL12soft_max_f32ILb1ELi64ELi64EfEvPKfPKT2_S1_Pf15soft_max_params.kd
    .uniform_work_group_size: 1
    .uses_dynamic_stack: false
    .vgpr_count:     18
    .vgpr_spill_count: 0
    .wavefront_size: 32
  - .args:
      - .address_space:  global
        .offset:         0
        .size:           8
        .value_kind:     global_buffer
      - .address_space:  global
        .offset:         8
        .size:           8
        .value_kind:     global_buffer
      - .address_space:  global
        .offset:         16
        .size:           8
        .value_kind:     global_buffer
      - .address_space:  global
        .offset:         24
        .size:           8
        .value_kind:     global_buffer
      - .offset:         32
        .size:           128
        .value_kind:     by_value
      - .offset:         160
        .size:           4
        .value_kind:     hidden_block_count_x
      - .offset:         164
        .size:           4
        .value_kind:     hidden_block_count_y
      - .offset:         168
        .size:           4
        .value_kind:     hidden_block_count_z
      - .offset:         172
        .size:           2
        .value_kind:     hidden_group_size_x
      - .offset:         174
        .size:           2
        .value_kind:     hidden_group_size_y
      - .offset:         176
        .size:           2
        .value_kind:     hidden_group_size_z
      - .offset:         178
        .size:           2
        .value_kind:     hidden_remainder_x
      - .offset:         180
        .size:           2
        .value_kind:     hidden_remainder_y
      - .offset:         182
        .size:           2
        .value_kind:     hidden_remainder_z
      - .offset:         200
        .size:           8
        .value_kind:     hidden_global_offset_x
      - .offset:         208
        .size:           8
        .value_kind:     hidden_global_offset_y
      - .offset:         216
        .size:           8
        .value_kind:     hidden_global_offset_z
      - .offset:         224
        .size:           2
        .value_kind:     hidden_grid_dims
      - .offset:         280
        .size:           4
        .value_kind:     hidden_dynamic_lds_size
    .group_segment_fixed_size: 0
    .kernarg_segment_align: 8
    .kernarg_segment_size: 416
    .language:       OpenCL C
    .language_version:
      - 2
      - 0
    .max_flat_workgroup_size: 1024
    .name:           _ZL12soft_max_f32ILb1ELi32ELi32EfEvPKfPKT2_S1_Pf15soft_max_params
    .private_segment_fixed_size: 0
    .sgpr_count:     38
    .sgpr_spill_count: 0
    .symbol:         _ZL12soft_max_f32ILb1ELi32ELi32EfEvPKfPKT2_S1_Pf15soft_max_params.kd
    .uniform_work_group_size: 1
    .uses_dynamic_stack: false
    .vgpr_count:     18
    .vgpr_spill_count: 0
    .wavefront_size: 32
  - .args:
      - .address_space:  global
        .offset:         0
        .size:           8
        .value_kind:     global_buffer
      - .address_space:  global
        .offset:         8
        .size:           8
        .value_kind:     global_buffer
      - .address_space:  global
        .offset:         16
        .size:           8
        .value_kind:     global_buffer
      - .address_space:  global
        .offset:         24
        .size:           8
        .value_kind:     global_buffer
      - .offset:         32
        .size:           128
        .value_kind:     by_value
      - .offset:         160
        .size:           4
        .value_kind:     hidden_block_count_x
      - .offset:         164
        .size:           4
        .value_kind:     hidden_block_count_y
      - .offset:         168
        .size:           4
        .value_kind:     hidden_block_count_z
      - .offset:         172
        .size:           2
        .value_kind:     hidden_group_size_x
      - .offset:         174
        .size:           2
        .value_kind:     hidden_group_size_y
      - .offset:         176
        .size:           2
        .value_kind:     hidden_group_size_z
      - .offset:         178
        .size:           2
        .value_kind:     hidden_remainder_x
      - .offset:         180
        .size:           2
        .value_kind:     hidden_remainder_y
      - .offset:         182
        .size:           2
        .value_kind:     hidden_remainder_z
      - .offset:         200
        .size:           8
        .value_kind:     hidden_global_offset_x
      - .offset:         208
        .size:           8
        .value_kind:     hidden_global_offset_y
      - .offset:         216
        .size:           8
        .value_kind:     hidden_global_offset_z
      - .offset:         224
        .size:           2
        .value_kind:     hidden_grid_dims
      - .offset:         240
        .size:           8
        .value_kind:     hidden_hostcall_buffer
      - .offset:         280
        .size:           4
        .value_kind:     hidden_dynamic_lds_size
    .group_segment_fixed_size: 0
    .kernarg_segment_align: 8
    .kernarg_segment_size: 416
    .language:       OpenCL C
    .language_version:
      - 2
      - 0
    .max_flat_workgroup_size: 1024
    .name:           _ZL12soft_max_f32ILb1ELi0ELi0EfEvPKfPKT2_S1_Pf15soft_max_params
    .private_segment_fixed_size: 64
    .sgpr_count:     42
    .sgpr_spill_count: 0
    .symbol:         _ZL12soft_max_f32ILb1ELi0ELi0EfEvPKfPKT2_S1_Pf15soft_max_params.kd
    .uniform_work_group_size: 1
    .uses_dynamic_stack: false
    .vgpr_count:     57
    .vgpr_spill_count: 0
    .wavefront_size: 32
  - .args:
      - .address_space:  global
        .offset:         0
        .size:           8
        .value_kind:     global_buffer
      - .address_space:  global
        .offset:         8
        .size:           8
        .value_kind:     global_buffer
      - .address_space:  global
        .offset:         16
        .size:           8
        .value_kind:     global_buffer
      - .address_space:  global
        .offset:         24
        .size:           8
        .value_kind:     global_buffer
      - .offset:         32
        .size:           128
        .value_kind:     by_value
      - .offset:         160
        .size:           4
        .value_kind:     hidden_block_count_x
      - .offset:         164
        .size:           4
        .value_kind:     hidden_block_count_y
      - .offset:         168
        .size:           4
        .value_kind:     hidden_block_count_z
      - .offset:         172
        .size:           2
        .value_kind:     hidden_group_size_x
      - .offset:         174
        .size:           2
        .value_kind:     hidden_group_size_y
      - .offset:         176
        .size:           2
        .value_kind:     hidden_group_size_z
      - .offset:         178
        .size:           2
        .value_kind:     hidden_remainder_x
      - .offset:         180
        .size:           2
        .value_kind:     hidden_remainder_y
      - .offset:         182
        .size:           2
        .value_kind:     hidden_remainder_z
      - .offset:         200
        .size:           8
        .value_kind:     hidden_global_offset_x
      - .offset:         208
        .size:           8
        .value_kind:     hidden_global_offset_y
      - .offset:         216
        .size:           8
        .value_kind:     hidden_global_offset_z
      - .offset:         224
        .size:           2
        .value_kind:     hidden_grid_dims
      - .offset:         240
        .size:           8
        .value_kind:     hidden_hostcall_buffer
      - .offset:         280
        .size:           4
        .value_kind:     hidden_dynamic_lds_size
    .group_segment_fixed_size: 0
    .kernarg_segment_align: 8
    .kernarg_segment_size: 416
    .language:       OpenCL C
    .language_version:
      - 2
      - 0
    .max_flat_workgroup_size: 1024
    .name:           _ZL12soft_max_f32ILb0ELi0ELi0EfEvPKfPKT2_S1_Pf15soft_max_params
    .private_segment_fixed_size: 64
    .sgpr_count:     42
    .sgpr_spill_count: 0
    .symbol:         _ZL12soft_max_f32ILb0ELi0ELi0EfEvPKfPKT2_S1_Pf15soft_max_params.kd
    .uniform_work_group_size: 1
    .uses_dynamic_stack: false
    .vgpr_count:     57
    .vgpr_spill_count: 0
    .wavefront_size: 32
amdhsa.target:   amdgcn-amd-amdhsa--gfx1250
amdhsa.version:
  - 1
  - 2
...

	.end_amdgpu_metadata
